;; amdgpu-corpus repo=ROCm/rocFFT kind=compiled arch=gfx1030 opt=O3
	.text
	.amdgcn_target "amdgcn-amd-amdhsa--gfx1030"
	.amdhsa_code_object_version 6
	.protected	fft_rtc_back_len945_factors_3_3_3_5_7_wgs_63_tpt_63_halfLds_dp_op_CI_CI_sbrr_dirReg ; -- Begin function fft_rtc_back_len945_factors_3_3_3_5_7_wgs_63_tpt_63_halfLds_dp_op_CI_CI_sbrr_dirReg
	.globl	fft_rtc_back_len945_factors_3_3_3_5_7_wgs_63_tpt_63_halfLds_dp_op_CI_CI_sbrr_dirReg
	.p2align	8
	.type	fft_rtc_back_len945_factors_3_3_3_5_7_wgs_63_tpt_63_halfLds_dp_op_CI_CI_sbrr_dirReg,@function
fft_rtc_back_len945_factors_3_3_3_5_7_wgs_63_tpt_63_halfLds_dp_op_CI_CI_sbrr_dirReg: ; @fft_rtc_back_len945_factors_3_3_3_5_7_wgs_63_tpt_63_halfLds_dp_op_CI_CI_sbrr_dirReg
; %bb.0:
	s_clause 0x2
	s_load_dwordx4 s[16:19], s[4:5], 0x18
	s_load_dwordx4 s[8:11], s[4:5], 0x0
	;; [unrolled: 1-line block ×3, first 2 shown]
	v_mul_u32_u24_e32 v2, 0x411, v0
	v_mov_b32_e32 v1, 0
	v_mov_b32_e32 v4, 0
	;; [unrolled: 1-line block ×3, first 2 shown]
	s_waitcnt lgkmcnt(0)
	s_load_dwordx2 s[20:21], s[16:17], 0x0
	s_load_dwordx2 s[2:3], s[18:19], 0x0
	v_cmp_lt_u64_e64 s0, s[10:11], 2
	v_add_nc_u32_sdwa v6, s6, v2 dst_sel:DWORD dst_unused:UNUSED_PAD src0_sel:DWORD src1_sel:WORD_1
	v_mov_b32_e32 v7, v1
	s_and_b32 vcc_lo, exec_lo, s0
	s_cbranch_vccnz .LBB0_8
; %bb.1:
	s_load_dwordx2 s[0:1], s[4:5], 0x10
	v_mov_b32_e32 v4, 0
	v_mov_b32_e32 v5, 0
	s_add_u32 s6, s18, 8
	s_addc_u32 s7, s19, 0
	s_add_u32 s22, s16, 8
	s_addc_u32 s23, s17, 0
	v_mov_b32_e32 v121, v5
	v_mov_b32_e32 v120, v4
	s_mov_b64 s[26:27], 1
	s_waitcnt lgkmcnt(0)
	s_add_u32 s24, s0, 8
	s_addc_u32 s25, s1, 0
.LBB0_2:                                ; =>This Inner Loop Header: Depth=1
	s_load_dwordx2 s[28:29], s[24:25], 0x0
                                        ; implicit-def: $vgpr122_vgpr123
	s_mov_b32 s0, exec_lo
	s_waitcnt lgkmcnt(0)
	v_or_b32_e32 v2, s29, v7
	v_cmpx_ne_u64_e32 0, v[1:2]
	s_xor_b32 s1, exec_lo, s0
	s_cbranch_execz .LBB0_4
; %bb.3:                                ;   in Loop: Header=BB0_2 Depth=1
	v_cvt_f32_u32_e32 v2, s28
	v_cvt_f32_u32_e32 v3, s29
	s_sub_u32 s0, 0, s28
	s_subb_u32 s30, 0, s29
	v_fmac_f32_e32 v2, 0x4f800000, v3
	v_rcp_f32_e32 v2, v2
	v_mul_f32_e32 v2, 0x5f7ffffc, v2
	v_mul_f32_e32 v3, 0x2f800000, v2
	v_trunc_f32_e32 v3, v3
	v_fmac_f32_e32 v2, 0xcf800000, v3
	v_cvt_u32_f32_e32 v3, v3
	v_cvt_u32_f32_e32 v2, v2
	v_mul_lo_u32 v8, s0, v3
	v_mul_hi_u32 v9, s0, v2
	v_mul_lo_u32 v10, s30, v2
	v_add_nc_u32_e32 v8, v9, v8
	v_mul_lo_u32 v9, s0, v2
	v_add_nc_u32_e32 v8, v8, v10
	v_mul_hi_u32 v10, v2, v9
	v_mul_lo_u32 v11, v2, v8
	v_mul_hi_u32 v12, v2, v8
	v_mul_hi_u32 v13, v3, v9
	v_mul_lo_u32 v9, v3, v9
	v_mul_hi_u32 v14, v3, v8
	v_mul_lo_u32 v8, v3, v8
	v_add_co_u32 v10, vcc_lo, v10, v11
	v_add_co_ci_u32_e32 v11, vcc_lo, 0, v12, vcc_lo
	v_add_co_u32 v9, vcc_lo, v10, v9
	v_add_co_ci_u32_e32 v9, vcc_lo, v11, v13, vcc_lo
	v_add_co_ci_u32_e32 v10, vcc_lo, 0, v14, vcc_lo
	v_add_co_u32 v8, vcc_lo, v9, v8
	v_add_co_ci_u32_e32 v9, vcc_lo, 0, v10, vcc_lo
	v_add_co_u32 v2, vcc_lo, v2, v8
	v_add_co_ci_u32_e32 v3, vcc_lo, v3, v9, vcc_lo
	v_mul_hi_u32 v8, s0, v2
	v_mul_lo_u32 v10, s30, v2
	v_mul_lo_u32 v9, s0, v3
	v_add_nc_u32_e32 v8, v8, v9
	v_mul_lo_u32 v9, s0, v2
	v_add_nc_u32_e32 v8, v8, v10
	v_mul_hi_u32 v10, v2, v9
	v_mul_lo_u32 v11, v2, v8
	v_mul_hi_u32 v12, v2, v8
	v_mul_hi_u32 v13, v3, v9
	v_mul_lo_u32 v9, v3, v9
	v_mul_hi_u32 v14, v3, v8
	v_mul_lo_u32 v8, v3, v8
	v_add_co_u32 v10, vcc_lo, v10, v11
	v_add_co_ci_u32_e32 v11, vcc_lo, 0, v12, vcc_lo
	v_add_co_u32 v9, vcc_lo, v10, v9
	v_add_co_ci_u32_e32 v9, vcc_lo, v11, v13, vcc_lo
	v_add_co_ci_u32_e32 v10, vcc_lo, 0, v14, vcc_lo
	v_add_co_u32 v8, vcc_lo, v9, v8
	v_add_co_ci_u32_e32 v9, vcc_lo, 0, v10, vcc_lo
	v_add_co_u32 v8, vcc_lo, v2, v8
	v_add_co_ci_u32_e32 v10, vcc_lo, v3, v9, vcc_lo
	v_mul_hi_u32 v12, v6, v8
	v_mad_u64_u32 v[8:9], null, v7, v8, 0
	v_mad_u64_u32 v[2:3], null, v6, v10, 0
	v_mad_u64_u32 v[10:11], null, v7, v10, 0
	v_add_co_u32 v2, vcc_lo, v12, v2
	v_add_co_ci_u32_e32 v3, vcc_lo, 0, v3, vcc_lo
	v_add_co_u32 v2, vcc_lo, v2, v8
	v_add_co_ci_u32_e32 v2, vcc_lo, v3, v9, vcc_lo
	v_add_co_ci_u32_e32 v3, vcc_lo, 0, v11, vcc_lo
	v_add_co_u32 v8, vcc_lo, v2, v10
	v_add_co_ci_u32_e32 v9, vcc_lo, 0, v3, vcc_lo
	v_mul_lo_u32 v10, s29, v8
	v_mad_u64_u32 v[2:3], null, s28, v8, 0
	v_mul_lo_u32 v11, s28, v9
	v_sub_co_u32 v2, vcc_lo, v6, v2
	v_add3_u32 v3, v3, v11, v10
	v_sub_nc_u32_e32 v10, v7, v3
	v_subrev_co_ci_u32_e64 v10, s0, s29, v10, vcc_lo
	v_add_co_u32 v11, s0, v8, 2
	v_add_co_ci_u32_e64 v12, s0, 0, v9, s0
	v_sub_co_u32 v13, s0, v2, s28
	v_sub_co_ci_u32_e32 v3, vcc_lo, v7, v3, vcc_lo
	v_subrev_co_ci_u32_e64 v10, s0, 0, v10, s0
	v_cmp_le_u32_e32 vcc_lo, s28, v13
	v_cmp_eq_u32_e64 s0, s29, v3
	v_cndmask_b32_e64 v13, 0, -1, vcc_lo
	v_cmp_le_u32_e32 vcc_lo, s29, v10
	v_cndmask_b32_e64 v14, 0, -1, vcc_lo
	v_cmp_le_u32_e32 vcc_lo, s28, v2
	;; [unrolled: 2-line block ×3, first 2 shown]
	v_cndmask_b32_e64 v15, 0, -1, vcc_lo
	v_cmp_eq_u32_e32 vcc_lo, s29, v10
	v_cndmask_b32_e64 v2, v15, v2, s0
	v_cndmask_b32_e32 v10, v14, v13, vcc_lo
	v_add_co_u32 v13, vcc_lo, v8, 1
	v_add_co_ci_u32_e32 v14, vcc_lo, 0, v9, vcc_lo
	v_cmp_ne_u32_e32 vcc_lo, 0, v10
	v_cndmask_b32_e32 v3, v14, v12, vcc_lo
	v_cndmask_b32_e32 v10, v13, v11, vcc_lo
	v_cmp_ne_u32_e32 vcc_lo, 0, v2
	v_cndmask_b32_e32 v123, v9, v3, vcc_lo
	v_cndmask_b32_e32 v122, v8, v10, vcc_lo
.LBB0_4:                                ;   in Loop: Header=BB0_2 Depth=1
	s_andn2_saveexec_b32 s0, s1
	s_cbranch_execz .LBB0_6
; %bb.5:                                ;   in Loop: Header=BB0_2 Depth=1
	v_cvt_f32_u32_e32 v2, s28
	s_sub_i32 s1, 0, s28
	v_mov_b32_e32 v123, v1
	v_rcp_iflag_f32_e32 v2, v2
	v_mul_f32_e32 v2, 0x4f7ffffe, v2
	v_cvt_u32_f32_e32 v2, v2
	v_mul_lo_u32 v3, s1, v2
	v_mul_hi_u32 v3, v2, v3
	v_add_nc_u32_e32 v2, v2, v3
	v_mul_hi_u32 v2, v6, v2
	v_mul_lo_u32 v3, v2, s28
	v_add_nc_u32_e32 v8, 1, v2
	v_sub_nc_u32_e32 v3, v6, v3
	v_subrev_nc_u32_e32 v9, s28, v3
	v_cmp_le_u32_e32 vcc_lo, s28, v3
	v_cndmask_b32_e32 v3, v3, v9, vcc_lo
	v_cndmask_b32_e32 v2, v2, v8, vcc_lo
	v_cmp_le_u32_e32 vcc_lo, s28, v3
	v_add_nc_u32_e32 v8, 1, v2
	v_cndmask_b32_e32 v122, v2, v8, vcc_lo
.LBB0_6:                                ;   in Loop: Header=BB0_2 Depth=1
	s_or_b32 exec_lo, exec_lo, s0
	v_mul_lo_u32 v8, v123, s28
	v_mul_lo_u32 v9, v122, s29
	s_load_dwordx2 s[0:1], s[22:23], 0x0
	v_mad_u64_u32 v[2:3], null, v122, s28, 0
	s_load_dwordx2 s[28:29], s[6:7], 0x0
	s_add_u32 s26, s26, 1
	s_addc_u32 s27, s27, 0
	s_add_u32 s6, s6, 8
	s_addc_u32 s7, s7, 0
	s_add_u32 s22, s22, 8
	v_add3_u32 v3, v3, v9, v8
	v_sub_co_u32 v2, vcc_lo, v6, v2
	s_addc_u32 s23, s23, 0
	s_add_u32 s24, s24, 8
	v_sub_co_ci_u32_e32 v3, vcc_lo, v7, v3, vcc_lo
	s_addc_u32 s25, s25, 0
	s_waitcnt lgkmcnt(0)
	v_mul_lo_u32 v6, s0, v3
	v_mul_lo_u32 v7, s1, v2
	v_mad_u64_u32 v[4:5], null, s0, v2, v[4:5]
	v_mul_lo_u32 v3, s28, v3
	v_mul_lo_u32 v8, s29, v2
	v_mad_u64_u32 v[120:121], null, s28, v2, v[120:121]
	v_cmp_ge_u64_e64 s0, s[26:27], s[10:11]
	v_add3_u32 v5, v7, v5, v6
	v_add3_u32 v121, v8, v121, v3
	s_and_b32 vcc_lo, exec_lo, s0
	s_cbranch_vccnz .LBB0_9
; %bb.7:                                ;   in Loop: Header=BB0_2 Depth=1
	v_mov_b32_e32 v6, v122
	v_mov_b32_e32 v7, v123
	s_branch .LBB0_2
.LBB0_8:
	v_mov_b32_e32 v121, v5
	v_mov_b32_e32 v123, v7
	;; [unrolled: 1-line block ×4, first 2 shown]
.LBB0_9:
	s_load_dwordx2 s[0:1], s[4:5], 0x28
	v_mul_hi_u32 v1, 0x4104105, v0
	s_lshl_b64 s[6:7], s[10:11], 3
                                        ; implicit-def: $vgpr158
                                        ; implicit-def: $vgpr90
                                        ; implicit-def: $vgpr159
                                        ; implicit-def: $vgpr61
                                        ; implicit-def: $vgpr60
	s_add_u32 s4, s18, s6
	s_addc_u32 s5, s19, s7
	s_waitcnt lgkmcnt(0)
	v_cmp_gt_u64_e32 vcc_lo, s[0:1], v[122:123]
	v_cmp_le_u64_e64 s0, s[0:1], v[122:123]
	s_and_saveexec_b32 s1, s0
	s_xor_b32 s0, exec_lo, s1
; %bb.10:
	v_mul_u32_u24_e32 v1, 63, v1
                                        ; implicit-def: $vgpr4_vgpr5
	v_sub_nc_u32_e32 v158, v0, v1
                                        ; implicit-def: $vgpr1
                                        ; implicit-def: $vgpr0
	v_add_nc_u32_e32 v90, 63, v158
	v_add_nc_u32_e32 v159, 0x7e, v158
	;; [unrolled: 1-line block ×4, first 2 shown]
; %bb.11:
	s_or_saveexec_b32 s1, s0
                                        ; implicit-def: $vgpr22_vgpr23
                                        ; implicit-def: $vgpr18_vgpr19
                                        ; implicit-def: $vgpr26_vgpr27
                                        ; implicit-def: $vgpr38_vgpr39
                                        ; implicit-def: $vgpr42_vgpr43
                                        ; implicit-def: $vgpr34_vgpr35
                                        ; implicit-def: $vgpr46_vgpr47
                                        ; implicit-def: $vgpr30_vgpr31
                                        ; implicit-def: $vgpr50_vgpr51
                                        ; implicit-def: $vgpr54_vgpr55
                                        ; implicit-def: $vgpr58_vgpr59
                                        ; implicit-def: $vgpr2_vgpr3
                                        ; implicit-def: $vgpr10_vgpr11
                                        ; implicit-def: $vgpr14_vgpr15
                                        ; implicit-def: $vgpr6_vgpr7
	s_xor_b32 exec_lo, exec_lo, s1
	s_cbranch_execz .LBB0_13
; %bb.12:
	s_add_u32 s6, s16, s6
	s_addc_u32 s7, s17, s7
	v_mul_u32_u24_e32 v1, 63, v1
	s_load_dwordx2 s[6:7], s[6:7], 0x0
	v_lshlrev_b64 v[4:5], 4, v[4:5]
	v_sub_nc_u32_e32 v158, v0, v1
	v_add_nc_u32_e32 v14, 0x13b, v158
	v_add_nc_u32_e32 v15, 0x276, v158
	v_mad_u64_u32 v[0:1], null, s20, v158, 0
	v_add_nc_u32_e32 v90, 63, v158
	v_mad_u64_u32 v[2:3], null, s20, v14, 0
	v_mad_u64_u32 v[6:7], null, s20, v15, 0
	;; [unrolled: 1-line block ×3, first 2 shown]
	s_waitcnt lgkmcnt(0)
	v_mul_lo_u32 v16, s7, v122
	v_mul_lo_u32 v17, s6, v123
	v_mad_u64_u32 v[10:11], null, s6, v122, 0
	v_mad_u64_u32 v[12:13], null, s21, v158, v[1:2]
	v_mov_b32_e32 v1, v3
	v_mov_b32_e32 v3, v7
	;; [unrolled: 1-line block ×3, first 2 shown]
	v_add_nc_u32_e32 v20, 0x17a, v158
	v_add3_u32 v11, v11, v17, v16
	v_mad_u64_u32 v[13:14], null, s21, v14, v[1:2]
	v_mad_u64_u32 v[14:15], null, s21, v15, v[3:4]
	v_lshlrev_b64 v[9:10], 4, v[10:11]
	v_mov_b32_e32 v1, v12
	v_mad_u64_u32 v[11:12], null, s21, v90, v[7:8]
	v_mov_b32_e32 v3, v13
	v_mad_u64_u32 v[16:17], null, s20, v20, 0
	v_add_co_u32 v9, s0, s12, v9
	v_add_co_ci_u32_e64 v10, s0, s13, v10, s0
	v_lshlrev_b64 v[0:1], 4, v[0:1]
	v_mov_b32_e32 v7, v14
	v_add_co_u32 v43, s0, v9, v4
	v_add_co_ci_u32_e64 v62, s0, v10, v5, s0
	v_lshlrev_b64 v[2:3], 4, v[2:3]
	v_add_co_u32 v0, s0, v43, v0
	v_lshlrev_b64 v[4:5], 4, v[6:7]
	v_add_nc_u32_e32 v12, 0x2b5, v158
	v_add_co_ci_u32_e64 v1, s0, v62, v1, s0
	v_add_co_u32 v2, s0, v43, v2
	v_mov_b32_e32 v9, v11
	v_add_co_ci_u32_e64 v3, s0, v62, v3, s0
	v_add_co_u32 v10, s0, v43, v4
	v_mad_u64_u32 v[18:19], null, s20, v12, 0
	v_add_co_ci_u32_e64 v11, s0, v62, v5, s0
	v_lshlrev_b64 v[5:6], 4, v[8:9]
	v_mov_b32_e32 v4, v17
	v_add_nc_u32_e32 v159, 0x7e, v158
	v_add_nc_u32_e32 v28, 0x1b9, v158
	;; [unrolled: 1-line block ×4, first 2 shown]
	v_mad_u64_u32 v[7:8], null, s21, v20, v[4:5]
	v_mov_b32_e32 v4, v19
	v_mad_u64_u32 v[22:23], null, s20, v159, 0
	v_add_co_u32 v20, s0, v43, v5
	v_mad_u64_u32 v[24:25], null, s21, v12, v[4:5]
	v_add_co_ci_u32_e64 v21, s0, v62, v6, s0
	v_mov_b32_e32 v17, v7
	s_clause 0x3
	global_load_dwordx4 v[4:7], v[0:1], off
	global_load_dwordx4 v[12:15], v[2:3], off
	;; [unrolled: 1-line block ×4, first 2 shown]
	v_mov_b32_e32 v20, v23
	v_mad_u64_u32 v[26:27], null, s20, v30, 0
	v_mov_b32_e32 v19, v24
	v_mad_u64_u32 v[24:25], null, s20, v28, 0
	v_mad_u64_u32 v[20:21], null, s21, v159, v[20:21]
	v_lshlrev_b64 v[16:17], 4, v[16:17]
	v_lshlrev_b64 v[18:19], 4, v[18:19]
	v_add_nc_u32_e32 v34, 0x1f8, v158
	v_add_nc_u32_e32 v36, 0x333, v158
	;; [unrolled: 1-line block ×4, first 2 shown]
	v_mov_b32_e32 v23, v20
	v_mov_b32_e32 v20, v25
	v_add_co_u32 v16, s0, v43, v16
	v_add_co_ci_u32_e64 v17, s0, v62, v17, s0
	v_mad_u64_u32 v[20:21], null, s21, v28, v[20:21]
	v_mad_u64_u32 v[28:29], null, s20, v61, 0
	v_lshlrev_b64 v[22:23], 4, v[22:23]
	v_mov_b32_e32 v21, v27
	v_add_co_u32 v18, s0, v43, v18
	v_add_co_ci_u32_e64 v19, s0, v62, v19, s0
	v_mov_b32_e32 v25, v20
	v_mad_u64_u32 v[20:21], null, s21, v30, v[21:22]
	v_mov_b32_e32 v21, v29
	v_mad_u64_u32 v[30:31], null, s20, v34, 0
	v_add_co_u32 v22, s0, v43, v22
	v_lshlrev_b64 v[24:25], 4, v[24:25]
	v_mov_b32_e32 v27, v20
	v_add_co_ci_u32_e64 v23, s0, v62, v23, s0
	v_mad_u64_u32 v[32:33], null, s21, v61, v[21:22]
	v_mov_b32_e32 v20, v31
	v_lshlrev_b64 v[26:27], 4, v[26:27]
	v_add_co_u32 v24, s0, v43, v24
	v_add_co_ci_u32_e64 v25, s0, v62, v25, s0
	v_mov_b32_e32 v29, v32
	v_mad_u64_u32 v[20:21], null, s21, v34, v[20:21]
	v_mad_u64_u32 v[32:33], null, s20, v36, 0
	v_lshlrev_b64 v[28:29], 4, v[28:29]
	v_mad_u64_u32 v[34:35], null, s20, v60, 0
	v_add_co_u32 v26, s0, v43, v26
	v_mov_b32_e32 v31, v20
	v_add_co_ci_u32_e64 v27, s0, v62, v27, s0
	v_add_co_u32 v20, s0, v43, v28
	v_add_co_ci_u32_e64 v21, s0, v62, v29, s0
	v_lshlrev_b64 v[29:30], 4, v[30:31]
	v_mov_b32_e32 v28, v33
	v_mov_b32_e32 v31, v35
	v_add_nc_u32_e32 v45, 0x372, v158
	s_clause 0x1
	global_load_dwordx4 v[56:59], v[16:17], off
	global_load_dwordx4 v[52:55], v[18:19], off
	v_mad_u64_u32 v[35:36], null, s21, v36, v[28:29]
	v_mad_u64_u32 v[36:37], null, s21, v60, v[31:32]
	;; [unrolled: 1-line block ×4, first 2 shown]
	v_mov_b32_e32 v33, v35
	v_add_co_u32 v39, s0, v43, v29
	v_add_co_ci_u32_e64 v40, s0, v62, v30, s0
	v_mov_b32_e32 v28, v38
	v_lshlrev_b64 v[18:19], 4, v[32:33]
	v_mov_b32_e32 v35, v36
	v_mad_u64_u32 v[16:17], null, s21, v44, v[28:29]
	v_mov_b32_e32 v17, v42
	s_clause 0x1
	global_load_dwordx4 v[48:51], v[22:23], off
	global_load_dwordx4 v[28:31], v[24:25], off
	v_mad_u64_u32 v[22:23], null, s21, v45, v[17:18]
	v_lshlrev_b64 v[23:24], 4, v[34:35]
	v_mov_b32_e32 v38, v16
	v_add_co_u32 v16, s0, v43, v18
	v_add_co_ci_u32_e64 v17, s0, v62, v19, s0
	v_mov_b32_e32 v42, v22
	v_lshlrev_b64 v[18:19], 4, v[37:38]
	v_add_co_u32 v22, s0, v43, v23
	v_add_co_ci_u32_e64 v23, s0, v62, v24, s0
	v_lshlrev_b64 v[24:25], 4, v[41:42]
	v_add_co_u32 v18, s0, v43, v18
	v_add_co_ci_u32_e64 v19, s0, v62, v19, s0
	s_clause 0x1
	global_load_dwordx4 v[44:47], v[26:27], off
	global_load_dwordx4 v[32:35], v[20:21], off
	v_add_co_u32 v20, s0, v43, v24
	v_add_co_ci_u32_e64 v21, s0, v62, v25, s0
	s_clause 0x4
	global_load_dwordx4 v[40:43], v[39:40], off
	global_load_dwordx4 v[36:39], v[16:17], off
	;; [unrolled: 1-line block ×5, first 2 shown]
.LBB0_13:
	s_or_b32 exec_lo, exec_lo, s1
	s_waitcnt vmcnt(13)
	v_add_f64 v[62:63], v[12:13], v[4:5]
	v_add_f64 v[64:65], v[14:15], v[6:7]
	s_waitcnt vmcnt(12)
	v_add_f64 v[66:67], v[8:9], v[12:13]
	s_waitcnt vmcnt(9)
	;; [unrolled: 2-line block ×3, first 2 shown]
	v_add_f64 v[80:81], v[44:45], v[28:29]
	v_add_f64 v[68:69], v[10:11], v[14:15]
	s_waitcnt vmcnt(3)
	v_add_f64 v[84:85], v[36:37], v[40:41]
	v_add_f64 v[70:71], v[56:57], v[0:1]
	;; [unrolled: 1-line block ×3, first 2 shown]
	s_waitcnt vmcnt(0)
	v_add_f64 v[86:87], v[20:21], v[16:17]
	v_add_f64 v[88:89], v[12:13], -v[8:9]
	v_add_f64 v[12:13], v[46:47], v[30:31]
	v_add_f64 v[76:77], v[54:55], v[58:59]
	;; [unrolled: 1-line block ×4, first 2 shown]
	v_add_f64 v[14:15], v[14:15], -v[10:11]
	v_add_f64 v[58:59], v[58:59], -v[54:55]
	;; [unrolled: 1-line block ×4, first 2 shown]
	s_mov_b32 s0, 0xe8584caa
	s_mov_b32 s1, 0xbfebb67a
	;; [unrolled: 1-line block ×3, first 2 shown]
	v_add_f64 v[8:9], v[8:9], v[62:63]
	v_add_f64 v[62:63], v[10:11], v[64:65]
	v_fma_f64 v[4:5], v[66:67], -0.5, v[4:5]
	v_fma_f64 v[0:1], v[74:75], -0.5, v[0:1]
	;; [unrolled: 1-line block ×4, first 2 shown]
	v_add_f64 v[48:49], v[40:41], v[32:33]
	v_add_f64 v[68:69], v[42:43], -v[38:39]
	v_fma_f64 v[32:33], v[84:85], -0.5, v[32:33]
	v_add_f64 v[6:7], v[52:53], v[70:71]
	v_add_f64 v[52:53], v[54:55], v[72:73]
	v_fma_f64 v[70:71], v[86:87], -0.5, v[24:25]
	v_add_f64 v[72:73], v[18:19], -v[22:23]
	v_add_f64 v[24:25], v[16:17], v[24:25]
	v_add_f64 v[66:67], v[42:43], v[34:35]
	v_fma_f64 v[50:51], v[12:13], -0.5, v[50:51]
	v_add_f64 v[12:13], v[38:39], v[42:43]
	v_add_f64 v[42:43], v[18:19], v[26:27]
	;; [unrolled: 1-line block ×3, first 2 shown]
	s_mov_b32 s6, s0
	v_fma_f64 v[54:55], v[76:77], -0.5, v[2:3]
	v_add_f64 v[2:3], v[44:45], v[78:79]
	v_add_f64 v[28:29], v[28:29], -v[44:45]
	v_add_f64 v[40:41], v[40:41], -v[36:37]
	v_fma_f64 v[74:75], v[14:15], s[0:1], v[4:5]
	v_fma_f64 v[4:5], v[14:15], s[6:7], v[4:5]
	v_fma_f64 v[14:15], v[58:59], s[0:1], v[0:1]
	v_fma_f64 v[44:45], v[30:31], s[0:1], v[10:11]
	v_fma_f64 v[10:11], v[30:31], s[6:7], v[10:11]
	v_fma_f64 v[0:1], v[58:59], s[6:7], v[0:1]
	v_add_f64 v[36:37], v[36:37], v[48:49]
	v_fma_f64 v[30:31], v[68:69], s[0:1], v[32:33]
	v_fma_f64 v[32:33], v[68:69], s[6:7], v[32:33]
	v_add_f64 v[16:17], v[16:17], -v[20:21]
	v_fma_f64 v[48:49], v[72:73], s[0:1], v[70:71]
	v_add_f64 v[24:25], v[20:21], v[24:25]
	v_fma_f64 v[58:59], v[72:73], s[6:7], v[70:71]
	v_add_f64 v[38:39], v[38:39], v[66:67]
	v_fma_f64 v[66:67], v[12:13], -0.5, v[34:35]
	v_mad_u32_u24 v70, v158, 24, 0
	v_fma_f64 v[18:19], v[18:19], -0.5, v[26:27]
	v_mad_i32_i24 v92, v90, 24, 0
	v_mad_i32_i24 v95, v159, 24, 0
	;; [unrolled: 1-line block ×4, first 2 shown]
	s_load_dwordx2 s[4:5], s[4:5], 0x0
	ds_write2_b64 v70, v[8:9], v[74:75] offset1:1
	ds_write_b64 v70, v[4:5] offset:16
	ds_write2_b64 v92, v[6:7], v[14:15] offset1:1
	ds_write_b64 v92, v[0:1] offset:16
	;; [unrolled: 2-line block ×3, first 2 shown]
	ds_write2_b64 v71, v[36:37], v[30:31] offset1:1
	v_fma_f64 v[35:36], v[88:89], s[6:7], v[64:65]
	v_fma_f64 v[44:45], v[88:89], s[0:1], v[64:65]
	ds_write_b64 v71, v[32:33] offset:16
	ds_write2_b64 v72, v[24:25], v[48:49] offset1:1
	ds_write_b64 v72, v[58:59] offset:16
	v_fma_f64 v[48:49], v[56:57], s[6:7], v[54:55]
	v_fma_f64 v[54:55], v[56:57], s[0:1], v[54:55]
	v_add_f64 v[46:47], v[46:47], v[82:83]
	v_fma_f64 v[56:57], v[28:29], s[6:7], v[50:51]
	v_lshlrev_b32_e32 v0, 4, v158
	v_fma_f64 v[50:51], v[28:29], s[0:1], v[50:51]
	v_and_b32_e32 v37, 0xff, v158
	v_fma_f64 v[58:59], v[40:41], s[6:7], v[66:67]
	v_fma_f64 v[64:65], v[40:41], s[0:1], v[66:67]
	v_add_f64 v[42:43], v[22:23], v[42:43]
	v_fma_f64 v[66:67], v[16:17], s[6:7], v[18:19]
	v_sub_nc_u32_e32 v91, v70, v0
	v_lshlrev_b32_e32 v21, 4, v60
	v_mul_lo_u16 v33, 0xab, v37
	v_lshlrev_b32_e32 v96, 4, v90
	v_lshlrev_b32_e32 v98, 4, v159
	;; [unrolled: 1-line block ×3, first 2 shown]
	v_add_nc_u32_e32 v93, 0x800, v91
	v_add_nc_u32_e32 v94, 0x1000, v91
	v_sub_nc_u32_e32 v34, v72, v21
	v_lshrrev_b16 v40, 9, v33
	v_sub_nc_u32_e32 v30, v92, v96
	v_add_nc_u32_e32 v97, 0x1800, v91
	v_sub_nc_u32_e32 v31, v95, v98
	v_sub_nc_u32_e32 v32, v71, v20
	s_waitcnt lgkmcnt(0)
	s_barrier
	buffer_gl0_inv
	ds_read2_b64 v[4:7], v93 offset0:59 offset1:122
	ds_read2_b64 v[0:3], v94 offset0:55 offset1:118
	;; [unrolled: 1-line block ×4, first 2 shown]
	ds_read_b64 v[28:29], v91
	ds_read_b64 v[26:27], v30
	;; [unrolled: 1-line block ×4, first 2 shown]
	v_fma_f64 v[68:69], v[16:17], s[0:1], v[18:19]
	ds_read_b64 v[24:25], v34
	ds_read2_b64 v[16:19], v97 offset0:51 offset1:114
	s_waitcnt lgkmcnt(0)
	s_barrier
	buffer_gl0_inv
	ds_write2_b64 v70, v[62:63], v[35:36] offset1:1
	ds_write_b64 v70, v[44:45] offset:16
	ds_write2_b64 v92, v[52:53], v[48:49] offset1:1
	v_mul_lo_u16 v33, v40, 3
	v_and_b32_e32 v36, 0xff, v90
	v_and_b32_e32 v35, 0xff, v159
	ds_write_b64 v92, v[54:55] offset:16
	ds_write2_b64 v95, v[46:47], v[56:57] offset1:1
	ds_write_b64 v95, v[50:51] offset:16
	ds_write2_b64 v71, v[38:39], v[58:59] offset1:1
	;; [unrolled: 2-line block ×3, first 2 shown]
	v_sub_nc_u16 v39, v158, v33
	v_mul_lo_u16 v33, 0xab, v36
	v_and_b32_e32 v42, 0xff, v61
	v_mul_lo_u16 v43, 0xab, v35
	v_mov_b32_e32 v38, 5
	v_mul_lo_u16 v45, v35, 57
	v_lshrrev_b16 v46, 9, v33
	v_mov_b32_e32 v33, 0xaaab
	v_mul_lo_u16 v44, 0xab, v42
	v_lshrrev_b16 v47, 9, v43
	v_lshlrev_b32_sdwa v41, v38, v39 dst_sel:DWORD dst_unused:UNUSED_PAD src0_sel:DWORD src1_sel:BYTE_0
	v_mul_lo_u16 v43, v46, 3
	v_mul_u32_u24_sdwa v33, v60, v33 dst_sel:DWORD dst_unused:UNUSED_PAD src0_sel:WORD_0 src1_sel:DWORD
	v_lshrrev_b16 v48, 9, v44
	v_mul_lo_u16 v44, v47, 3
	ds_write_b64 v72, v[68:69] offset:16
	v_sub_nc_u16 v57, v90, v43
	v_lshrrev_b32_e32 v58, 17, v33
	v_mul_lo_u16 v33, v48, 3
	v_sub_nc_u16 v59, v159, v44
	s_waitcnt lgkmcnt(0)
	v_lshlrev_b32_sdwa v43, v38, v57 dst_sel:DWORD dst_unused:UNUSED_PAD src0_sel:DWORD src1_sel:BYTE_0
	v_mul_lo_u16 v44, v58, 3
	v_sub_nc_u16 v119, v61, v33
	v_lshlrev_b32_sdwa v33, v38, v59 dst_sel:DWORD dst_unused:UNUSED_PAD src0_sel:DWORD src1_sel:BYTE_0
	s_barrier
	buffer_gl0_inv
	v_sub_nc_u16 v124, v60, v44
	s_clause 0x4
	global_load_dwordx4 v[49:52], v41, s[8:9]
	global_load_dwordx4 v[53:56], v43, s[8:9]
	global_load_dwordx4 v[62:65], v43, s[8:9] offset:16
	global_load_dwordx4 v[66:69], v41, s[8:9] offset:16
	;; [unrolled: 1-line block ×3, first 2 shown]
	v_lshlrev_b32_sdwa v43, v38, v119 dst_sel:DWORD dst_unused:UNUSED_PAD src0_sel:DWORD src1_sel:BYTE_0
	v_lshlrev_b32_sdwa v41, v38, v124 dst_sel:DWORD dst_unused:UNUSED_PAD src0_sel:DWORD src1_sel:WORD_0
	s_clause 0x4
	global_load_dwordx4 v[74:77], v33, s[8:9]
	global_load_dwordx4 v[78:81], v43, s[8:9]
	;; [unrolled: 1-line block ×3, first 2 shown]
	global_load_dwordx4 v[86:89], v43, s[8:9] offset:16
	global_load_dwordx4 v[99:102], v41, s[8:9] offset:16
	v_mul_lo_u16 v43, v37, 57
	v_mul_lo_u16 v44, v36, 57
	;; [unrolled: 1-line block ×3, first 2 shown]
	v_mov_b32_e32 v103, 0x48
	ds_read2_b64 v[111:114], v94 offset0:55 offset1:118
	v_lshrrev_b16 v42, 9, v43
	v_lshrrev_b16 v43, 9, v44
	;; [unrolled: 1-line block ×4, first 2 shown]
	v_mul_u32_u24_sdwa v128, v40, v103 dst_sel:DWORD dst_unused:UNUSED_PAD src0_sel:WORD_0 src1_sel:DWORD
	v_mul_u32_u24_sdwa v129, v46, v103 dst_sel:DWORD dst_unused:UNUSED_PAD src0_sel:WORD_0 src1_sel:DWORD
	;; [unrolled: 1-line block ×4, first 2 shown]
	ds_read2_b64 v[103:106], v93 offset0:59 offset1:122
	v_mov_b32_e32 v33, 3
	v_mul_lo_u16 v48, v45, 9
	ds_read2_b64 v[107:110], v94 offset0:181 offset1:244
	ds_read2_b64 v[115:118], v93 offset0:185 offset1:248
	v_mul_u32_u24_e32 v147, 0x48, v58
	v_lshlrev_b32_sdwa v57, v33, v57 dst_sel:DWORD dst_unused:UNUSED_PAD src0_sel:DWORD src1_sel:BYTE_0
	v_sub_nc_u16 v48, v61, v48
	v_lshlrev_b32_sdwa v61, v33, v124 dst_sel:DWORD dst_unused:UNUSED_PAD src0_sel:DWORD src1_sel:WORD_0
	ds_read2_b64 v[124:127], v97 offset0:51 offset1:114
	v_lshlrev_b32_sdwa v58, v33, v59 dst_sel:DWORD dst_unused:UNUSED_PAD src0_sel:DWORD src1_sel:BYTE_0
	v_lshlrev_b32_sdwa v39, v33, v39 dst_sel:DWORD dst_unused:UNUSED_PAD src0_sel:DWORD src1_sel:BYTE_0
	v_add3_u32 v150, 0, v129, v57
	v_lshlrev_b32_sdwa v59, v33, v119 dst_sel:DWORD dst_unused:UNUSED_PAD src0_sel:DWORD src1_sel:BYTE_0
	v_mov_b32_e32 v41, 0xe38f
	v_add3_u32 v151, 0, v130, v58
	v_add3_u32 v39, 0, v128, v39
	v_mul_lo_u16 v40, v42, 9
	v_add3_u32 v59, 0, v146, v59
	v_add3_u32 v146, 0, v147, v61
	v_mul_u32_u24_sdwa v41, v60, v41 dst_sel:DWORD dst_unused:UNUSED_PAD src0_sel:WORD_0 src1_sel:DWORD
	v_mul_lo_u16 v46, v43, 9
	v_mul_lo_u16 v47, v44, 9
	v_sub_nc_u16 v40, v158, v40
	s_mov_b32 s17, 0x3fee6f0e
	v_lshrrev_b32_e32 v41, 19, v41
	v_sub_nc_u16 v46, v90, v46
	v_sub_nc_u16 v47, v159, v47
	v_lshlrev_b32_sdwa v119, v38, v40 dst_sel:DWORD dst_unused:UNUSED_PAD src0_sel:DWORD src1_sel:BYTE_0
	v_lshlrev_b32_sdwa v40, v33, v40 dst_sel:DWORD dst_unused:UNUSED_PAD src0_sel:DWORD src1_sel:BYTE_0
	v_mul_lo_u16 v148, v41, 9
	v_lshlrev_b32_sdwa v149, v38, v46 dst_sel:DWORD dst_unused:UNUSED_PAD src0_sel:DWORD src1_sel:BYTE_0
	s_mov_b32 s10, 0x4755a5e
	s_mov_b32 s11, 0xbfe2cf23
	;; [unrolled: 1-line block ×6, first 2 shown]
	v_sub_nc_u32_e32 v96, 0, v96
	s_waitcnt vmcnt(9) lgkmcnt(3)
	v_mul_f64 v[57:58], v[103:104], v[51:52]
	s_waitcnt vmcnt(6)
	v_mul_f64 v[132:133], v[113:114], v[68:69]
	v_mul_f64 v[51:52], v[4:5], v[51:52]
	;; [unrolled: 1-line block ×5, first 2 shown]
	s_waitcnt lgkmcnt(2)
	v_mul_f64 v[130:131], v[107:108], v[64:65]
	v_mul_f64 v[64:65], v[8:9], v[64:65]
	s_waitcnt vmcnt(5)
	v_mul_f64 v[134:135], v[109:110], v[72:73]
	s_waitcnt vmcnt(4) lgkmcnt(1)
	v_mul_f64 v[136:137], v[115:116], v[76:77]
	v_mul_f64 v[72:73], v[10:11], v[72:73]
	;; [unrolled: 1-line block ×3, first 2 shown]
	s_waitcnt vmcnt(3)
	v_mul_f64 v[138:139], v[117:118], v[80:81]
	s_waitcnt vmcnt(1) lgkmcnt(0)
	v_mul_f64 v[142:143], v[124:125], v[88:89]
	v_mul_f64 v[80:81], v[14:15], v[80:81]
	v_mul_f64 v[88:89], v[16:17], v[88:89]
	v_mul_f64 v[140:141], v[111:112], v[84:85]
	s_waitcnt vmcnt(0)
	v_mul_f64 v[144:145], v[126:127], v[101:102]
	v_mul_f64 v[84:85], v[0:1], v[84:85]
	;; [unrolled: 1-line block ×3, first 2 shown]
	v_fma_f64 v[4:5], v[4:5], v[49:50], v[57:58]
	v_fma_f64 v[2:3], v[2:3], v[66:67], v[132:133]
	v_fma_f64 v[49:50], v[103:104], v[49:50], -v[51:52]
	v_fma_f64 v[6:7], v[6:7], v[53:54], v[128:129]
	v_fma_f64 v[51:52], v[105:106], v[53:54], -v[55:56]
	v_fma_f64 v[55:56], v[113:114], v[66:67], -v[68:69]
	v_fma_f64 v[8:9], v[8:9], v[62:63], v[130:131]
	v_fma_f64 v[53:54], v[107:108], v[62:63], -v[64:65]
	v_fma_f64 v[10:11], v[10:11], v[70:71], v[134:135]
	v_fma_f64 v[12:13], v[12:13], v[74:75], v[136:137]
	v_fma_f64 v[57:58], v[109:110], v[70:71], -v[72:73]
	v_fma_f64 v[61:62], v[115:116], v[74:75], -v[76:77]
	v_fma_f64 v[14:15], v[14:15], v[78:79], v[138:139]
	v_fma_f64 v[16:17], v[16:17], v[86:87], v[142:143]
	v_fma_f64 v[63:64], v[117:118], v[78:79], -v[80:81]
	;; [unrolled: 4-line block ×3, first 2 shown]
	v_fma_f64 v[69:70], v[126:127], v[99:100], -v[101:102]
	ds_read_b64 v[71:72], v91
	ds_read_b64 v[73:74], v30
	;; [unrolled: 1-line block ×5, first 2 shown]
	s_waitcnt lgkmcnt(0)
	v_add_f64 v[83:84], v[28:29], v[4:5]
	v_add_f64 v[81:82], v[4:5], v[2:3]
	v_add_f64 v[4:5], v[4:5], -v[2:3]
	v_add_f64 v[99:100], v[26:27], v[6:7]
	s_barrier
	v_add_f64 v[126:127], v[49:50], v[55:56]
	v_add_f64 v[87:88], v[6:7], v[8:9]
	;; [unrolled: 1-line block ×3, first 2 shown]
	v_add_f64 v[85:86], v[49:50], -v[55:56]
	v_add_f64 v[103:104], v[12:13], v[10:11]
	v_add_f64 v[101:102], v[51:52], -v[53:54]
	v_add_f64 v[130:131], v[61:62], v[57:58]
	;; [unrolled: 2-line block ×3, first 2 shown]
	v_add_f64 v[49:50], v[71:72], v[49:50]
	v_add_f64 v[132:133], v[63:64], v[67:68]
	;; [unrolled: 1-line block ×4, first 2 shown]
	v_add_f64 v[113:114], v[63:64], -v[67:68]
	v_add_f64 v[134:135], v[65:66], v[69:70]
	v_add_f64 v[63:64], v[77:78], v[63:64]
	v_add_f64 v[124:125], v[65:66], -v[69:70]
	v_add_f64 v[65:66], v[79:80], v[65:66]
	v_fma_f64 v[28:29], v[81:82], -0.5, v[28:29]
	v_add_f64 v[105:106], v[22:23], v[12:13]
	v_add_f64 v[107:108], v[61:62], -v[57:58]
	v_add_f64 v[61:62], v[75:76], v[61:62]
	v_fma_f64 v[71:72], v[126:127], -0.5, v[71:72]
	v_fma_f64 v[26:27], v[87:88], -0.5, v[26:27]
	;; [unrolled: 1-line block ×3, first 2 shown]
	v_add_f64 v[12:13], v[12:13], -v[10:11]
	v_fma_f64 v[22:23], v[103:104], -0.5, v[22:23]
	v_add_f64 v[111:112], v[20:21], v[14:15]
	v_fma_f64 v[75:76], v[130:131], -0.5, v[75:76]
	v_add_f64 v[14:15], v[14:15], -v[16:17]
	v_fma_f64 v[20:21], v[109:110], -0.5, v[20:21]
	v_add_f64 v[81:82], v[49:50], v[55:56]
	v_fma_f64 v[49:50], v[132:133], -0.5, v[77:78]
	v_add_f64 v[117:118], v[24:25], v[0:1]
	v_fma_f64 v[24:25], v[115:116], -0.5, v[24:25]
	v_add_f64 v[0:1], v[0:1], -v[18:19]
	v_add_f64 v[77:78], v[51:52], v[53:54]
	v_fma_f64 v[51:52], v[134:135], -0.5, v[79:80]
	v_add_f64 v[2:3], v[83:84], v[2:3]
	v_add_f64 v[63:64], v[63:64], v[67:68]
	v_fma_f64 v[53:54], v[85:86], s[0:1], v[28:29]
	v_fma_f64 v[28:29], v[85:86], s[6:7], v[28:29]
	v_add_f64 v[8:9], v[99:100], v[8:9]
	v_add_f64 v[65:66], v[65:66], v[69:70]
	v_fma_f64 v[67:68], v[4:5], s[6:7], v[71:72]
	v_fma_f64 v[55:56], v[101:102], s[0:1], v[26:27]
	;; [unrolled: 1-line block ×5, first 2 shown]
	v_add_f64 v[10:11], v[105:106], v[10:11]
	v_add_f64 v[57:58], v[61:62], v[57:58]
	v_fma_f64 v[61:62], v[107:108], s[0:1], v[22:23]
	v_fma_f64 v[73:74], v[6:7], s[0:1], v[73:74]
	v_fma_f64 v[22:23], v[107:108], s[6:7], v[22:23]
	v_fma_f64 v[85:86], v[12:13], s[6:7], v[75:76]
	v_add_f64 v[16:17], v[111:112], v[16:17]
	v_fma_f64 v[79:80], v[113:114], s[0:1], v[20:21]
	v_fma_f64 v[12:13], v[12:13], s[0:1], v[75:76]
	v_fma_f64 v[20:21], v[113:114], s[6:7], v[20:21]
	v_fma_f64 v[75:76], v[14:15], s[6:7], v[49:50]
	v_add_f64 v[18:19], v[117:118], v[18:19]
	v_fma_f64 v[83:84], v[124:125], s[0:1], v[24:25]
	v_fma_f64 v[14:15], v[14:15], s[0:1], v[49:50]
	v_fma_f64 v[24:25], v[124:125], s[6:7], v[24:25]
	v_fma_f64 v[87:88], v[0:1], s[6:7], v[51:52]
	v_fma_f64 v[99:100], v[0:1], s[0:1], v[51:52]
	buffer_gl0_inv
	ds_write2_b64 v39, v[2:3], v[53:54] offset1:3
	ds_write_b64 v39, v[28:29] offset:48
	ds_write2_b64 v150, v[8:9], v[55:56] offset1:3
	ds_write_b64 v150, v[26:27] offset:48
	;; [unrolled: 2-line block ×5, first 2 shown]
	v_lshlrev_b32_sdwa v10, v38, v47 dst_sel:DWORD dst_unused:UNUSED_PAD src0_sel:DWORD src1_sel:BYTE_0
	s_waitcnt lgkmcnt(0)
	s_barrier
	buffer_gl0_inv
	ds_read_b64 v[8:9], v91
	ds_read_b64 v[6:7], v30
	;; [unrolled: 1-line block ×5, first 2 shown]
	ds_read2_b64 v[16:19], v93 offset0:59 offset1:122
	ds_read2_b64 v[20:23], v94 offset0:55 offset1:118
	;; [unrolled: 1-line block ×5, first 2 shown]
	s_waitcnt lgkmcnt(0)
	s_barrier
	buffer_gl0_inv
	ds_write2_b64 v39, v[81:82], v[67:68] offset1:3
	ds_write_b64 v39, v[69:70] offset:48
	ds_write2_b64 v150, v[77:78], v[71:72] offset1:3
	ds_write_b64 v150, v[73:74] offset:48
	;; [unrolled: 2-line block ×5, first 2 shown]
	s_waitcnt lgkmcnt(0)
	s_barrier
	buffer_gl0_inv
	global_load_dwordx4 v[61:64], v119, s[8:9] offset:96
	v_sub_nc_u16 v28, v60, v148
	s_clause 0x2
	global_load_dwordx4 v[57:60], v149, s[8:9] offset:96
	global_load_dwordx4 v[65:68], v149, s[8:9] offset:112
	;; [unrolled: 1-line block ×3, first 2 shown]
	v_lshlrev_b32_sdwa v11, v38, v48 dst_sel:DWORD dst_unused:UNUSED_PAD src0_sel:DWORD src1_sel:BYTE_0
	global_load_dwordx4 v[73:76], v10, s[8:9] offset:112
	v_lshlrev_b32_sdwa v12, v38, v28 dst_sel:DWORD dst_unused:UNUSED_PAD src0_sel:DWORD src1_sel:WORD_0
	s_clause 0x4
	global_load_dwordx4 v[77:80], v10, s[8:9] offset:96
	global_load_dwordx4 v[81:84], v11, s[8:9] offset:96
	;; [unrolled: 1-line block ×5, first 2 shown]
	v_mov_b32_e32 v15, 0xd8
	v_mul_lo_u16 v10, v37, 19
	v_mul_lo_u16 v11, v36, 19
	;; [unrolled: 1-line block ×3, first 2 shown]
	v_mul_u32_u24_e32 v136, 0xd8, v41
	v_mul_u32_u24_sdwa v29, v42, v15 dst_sel:DWORD dst_unused:UNUSED_PAD src0_sel:WORD_0 src1_sel:DWORD
	v_mul_u32_u24_sdwa v39, v43, v15 dst_sel:DWORD dst_unused:UNUSED_PAD src0_sel:WORD_0 src1_sel:DWORD
	;; [unrolled: 1-line block ×3, first 2 shown]
	ds_read2_b64 v[35:38], v93 offset0:59 offset1:122
	ds_read2_b64 v[41:44], v94 offset0:181 offset1:244
	;; [unrolled: 1-line block ×4, first 2 shown]
	v_mul_u32_u24_sdwa v115, v45, v15 dst_sel:DWORD dst_unused:UNUSED_PAD src0_sel:WORD_0 src1_sel:DWORD
	v_lshlrev_b32_sdwa v116, v33, v46 dst_sel:DWORD dst_unused:UNUSED_PAD src0_sel:DWORD src1_sel:BYTE_0
	v_lshlrev_b32_sdwa v117, v33, v47 dst_sel:DWORD dst_unused:UNUSED_PAD src0_sel:DWORD src1_sel:BYTE_0
	;; [unrolled: 1-line block ×3, first 2 shown]
	ds_read2_b64 v[45:48], v97 offset0:51 offset1:114
	v_lshlrev_b32_sdwa v137, v33, v28 dst_sel:DWORD dst_unused:UNUSED_PAD src0_sel:DWORD src1_sel:WORD_0
	v_add3_u32 v140, 0, v29, v40
	v_add3_u32 v141, 0, v39, v116
	v_add3_u32 v142, 0, v89, v117
	v_add3_u32 v143, 0, v115, v118
	v_add3_u32 v144, 0, v136, v137
	ds_read_b64 v[136:137], v34
	v_lshrrev_b16 v13, 9, v10
	v_lshrrev_b16 v14, 9, v11
	;; [unrolled: 1-line block ×3, first 2 shown]
	v_mov_b32_e32 v119, 6
	v_mul_lo_u16 v11, v13, 27
	v_mul_lo_u16 v12, v14, 27
	;; [unrolled: 1-line block ×3, first 2 shown]
	v_sub_nc_u16 v11, v158, v11
	v_sub_nc_u16 v12, v90, v12
	;; [unrolled: 1-line block ×3, first 2 shown]
	v_lshlrev_b32_sdwa v138, v119, v11 dst_sel:DWORD dst_unused:UNUSED_PAD src0_sel:DWORD src1_sel:BYTE_0
	v_lshlrev_b32_sdwa v139, v119, v12 dst_sel:DWORD dst_unused:UNUSED_PAD src0_sel:DWORD src1_sel:BYTE_0
	;; [unrolled: 1-line block ×4, first 2 shown]
	s_waitcnt vmcnt(9) lgkmcnt(5)
	v_mul_f64 v[28:29], v[35:36], v[63:64]
	v_mul_f64 v[39:40], v[16:17], v[63:64]
	s_waitcnt vmcnt(8)
	v_mul_f64 v[63:64], v[37:38], v[59:60]
	v_mul_f64 v[59:60], v[18:19], v[59:60]
	s_waitcnt vmcnt(6) lgkmcnt(3)
	v_mul_f64 v[117:118], v[109:110], v[71:72]
	v_mul_f64 v[71:72], v[22:23], v[71:72]
	;; [unrolled: 1-line block ×4, first 2 shown]
	s_waitcnt vmcnt(5)
	v_mul_f64 v[124:125], v[43:44], v[75:76]
	v_mul_f64 v[75:76], v[26:27], v[75:76]
	s_waitcnt vmcnt(4) lgkmcnt(2)
	v_mul_f64 v[126:127], v[111:112], v[79:80]
	v_mul_f64 v[79:80], v[49:50], v[79:80]
	s_waitcnt vmcnt(3)
	v_mul_f64 v[128:129], v[113:114], v[83:84]
	v_mul_f64 v[83:84], v[51:52], v[83:84]
	s_waitcnt vmcnt(2) lgkmcnt(1)
	v_mul_f64 v[130:131], v[45:46], v[87:88]
	v_mul_f64 v[87:88], v[53:54], v[87:88]
	s_waitcnt vmcnt(1)
	v_mul_f64 v[132:133], v[107:108], v[101:102]
	s_waitcnt vmcnt(0)
	v_mul_f64 v[134:135], v[47:48], v[105:106]
	v_mul_f64 v[101:102], v[20:21], v[101:102]
	;; [unrolled: 1-line block ×3, first 2 shown]
	v_fma_f64 v[16:17], v[16:17], v[61:62], v[28:29]
	v_fma_f64 v[28:29], v[35:36], v[61:62], -v[39:40]
	v_fma_f64 v[18:19], v[18:19], v[57:58], v[63:64]
	v_fma_f64 v[34:35], v[37:38], v[57:58], -v[59:60]
	;; [unrolled: 2-line block ×6, first 2 shown]
	ds_read_b64 v[61:62], v91
	ds_read_b64 v[63:64], v30
	;; [unrolled: 1-line block ×4, first 2 shown]
	v_fma_f64 v[51:52], v[51:52], v[81:82], v[128:129]
	v_fma_f64 v[57:58], v[113:114], v[81:82], -v[83:84]
	v_fma_f64 v[53:54], v[53:54], v[85:86], v[130:131]
	v_fma_f64 v[44:45], v[45:46], v[85:86], -v[87:88]
	v_fma_f64 v[20:21], v[20:21], v[99:100], v[132:133]
	v_fma_f64 v[55:56], v[55:56], v[103:104], v[134:135]
	v_fma_f64 v[59:60], v[107:108], v[99:100], -v[101:102]
	v_fma_f64 v[46:47], v[47:48], v[103:104], -v[105:106]
	s_waitcnt lgkmcnt(0)
	v_add_f64 v[71:72], v[8:9], v[16:17]
	s_barrier
	v_add_f64 v[77:78], v[6:7], v[18:19]
	buffer_gl0_inv
	v_add_f64 v[69:70], v[16:17], v[22:23]
	v_add_f64 v[73:74], v[28:29], -v[38:39]
	v_add_f64 v[75:76], v[18:19], v[24:25]
	v_add_f64 v[105:106], v[61:62], v[28:29]
	;; [unrolled: 1-line block ×6, first 2 shown]
	v_add_f64 v[79:80], v[34:35], -v[36:37]
	v_add_f64 v[99:100], v[2:3], v[51:52]
	v_add_f64 v[16:17], v[16:17], -v[22:23]
	v_add_f64 v[87:88], v[51:52], v[53:54]
	v_add_f64 v[115:116], v[57:58], v[44:45]
	v_add_f64 v[101:102], v[57:58], -v[44:45]
	v_add_f64 v[103:104], v[20:21], v[55:56]
	v_add_f64 v[109:110], v[0:1], v[20:21]
	v_add_f64 v[117:118], v[59:60], v[46:47]
	v_add_f64 v[34:35], v[63:64], v[34:35]
	v_add_f64 v[57:58], v[67:68], v[57:58]
	v_add_f64 v[107:108], v[59:60], -v[46:47]
	v_add_f64 v[18:19], v[18:19], -v[24:25]
	v_add_f64 v[59:60], v[136:137], v[59:60]
	v_fma_f64 v[8:9], v[69:70], -0.5, v[8:9]
	v_add_f64 v[83:84], v[4:5], v[42:43]
	v_fma_f64 v[6:7], v[75:76], -0.5, v[6:7]
	v_add_f64 v[85:86], v[49:50], -v[40:41]
	v_fma_f64 v[28:29], v[28:29], -0.5, v[61:62]
	v_fma_f64 v[61:62], v[111:112], -0.5, v[63:64]
	v_add_f64 v[42:43], v[42:43], -v[26:27]
	v_add_f64 v[48:49], v[65:66], v[49:50]
	v_fma_f64 v[4:5], v[81:82], -0.5, v[4:5]
	v_add_f64 v[63:64], v[105:106], v[38:39]
	v_fma_f64 v[38:39], v[113:114], -0.5, v[65:66]
	v_add_f64 v[50:51], v[51:52], -v[53:54]
	v_fma_f64 v[2:3], v[87:88], -0.5, v[2:3]
	v_fma_f64 v[65:66], v[115:116], -0.5, v[67:68]
	v_add_f64 v[20:21], v[20:21], -v[55:56]
	v_fma_f64 v[0:1], v[103:104], -0.5, v[0:1]
	v_fma_f64 v[67:68], v[117:118], -0.5, v[136:137]
	v_add_f64 v[22:23], v[71:72], v[22:23]
	v_add_f64 v[52:53], v[99:100], v[53:54]
	;; [unrolled: 1-line block ×5, first 2 shown]
	v_fma_f64 v[34:35], v[73:74], s[0:1], v[8:9]
	v_fma_f64 v[8:9], v[73:74], s[6:7], v[8:9]
	v_add_f64 v[24:25], v[77:78], v[24:25]
	v_fma_f64 v[36:37], v[79:80], s[0:1], v[6:7]
	v_fma_f64 v[56:57], v[16:17], s[6:7], v[28:29]
	;; [unrolled: 1-line block ×3, first 2 shown]
	v_add_f64 v[46:47], v[59:60], v[46:47]
	v_fma_f64 v[58:59], v[18:19], s[6:7], v[61:62]
	v_fma_f64 v[6:7], v[79:80], s[6:7], v[6:7]
	;; [unrolled: 1-line block ×3, first 2 shown]
	v_add_f64 v[26:27], v[83:84], v[26:27]
	v_add_f64 v[48:49], v[48:49], v[40:41]
	v_fma_f64 v[40:41], v[85:86], s[0:1], v[4:5]
	v_fma_f64 v[60:61], v[42:43], s[6:7], v[38:39]
	;; [unrolled: 1-line block ×12, first 2 shown]
	ds_write2_b64 v140, v[22:23], v[34:35] offset1:9
	ds_write_b64 v140, v[8:9] offset:144
	ds_write2_b64 v141, v[24:25], v[36:37] offset1:9
	ds_write_b64 v141, v[6:7] offset:144
	;; [unrolled: 2-line block ×5, first 2 shown]
	s_waitcnt lgkmcnt(0)
	s_barrier
	buffer_gl0_inv
	ds_read_b64 v[8:9], v30
	ds_read_b64 v[54:55], v32
	;; [unrolled: 1-line block ×3, first 2 shown]
	ds_read2_b64 v[0:3], v91 offset1:252
	ds_read2_b64 v[4:7], v93 offset0:59 offset1:122
	ds_read2_b64 v[22:25], v94 offset0:55 offset1:118
	;; [unrolled: 1-line block ×5, first 2 shown]
	s_waitcnt lgkmcnt(0)
	s_barrier
	buffer_gl0_inv
	ds_write2_b64 v140, v[63:64], v[56:57] offset1:9
	ds_write_b64 v140, v[16:17] offset:144
	ds_write2_b64 v141, v[69:70], v[58:59] offset1:9
	ds_write_b64 v141, v[18:19] offset:144
	;; [unrolled: 2-line block ×5, first 2 shown]
	s_waitcnt lgkmcnt(0)
	s_barrier
	buffer_gl0_inv
	s_clause 0x1
	global_load_dwordx4 v[42:45], v138, s[8:9] offset:416
	global_load_dwordx4 v[46:49], v139, s[8:9] offset:416
	v_lshlrev_b32_sdwa v16, v119, v15 dst_sel:DWORD dst_unused:UNUSED_PAD src0_sel:DWORD src1_sel:BYTE_0
	s_clause 0x9
	global_load_dwordx4 v[66:69], v138, s[8:9] offset:400
	global_load_dwordx4 v[76:79], v138, s[8:9] offset:432
	;; [unrolled: 1-line block ×10, first 2 shown]
	ds_read2_b64 v[70:73], v94 offset0:55 offset1:118
	ds_read2_b64 v[128:131], v93 offset0:59 offset1:122
	;; [unrolled: 1-line block ×3, first 2 shown]
	ds_read_b64 v[144:145], v32
	ds_read2_b64 v[136:139], v93 offset0:185 offset1:248
	ds_read2_b64 v[140:143], v97 offset0:51 offset1:114
	ds_read2_b64 v[16:19], v91 offset1:252
	ds_read_b64 v[20:21], v31
	s_mov_b32 s6, 0x134454ff
	s_mov_b32 s7, 0xbfee6f0e
	;; [unrolled: 1-line block ×3, first 2 shown]
	v_lshlrev_b32_sdwa v15, v33, v15 dst_sel:DWORD dst_unused:UNUSED_PAD src0_sel:DWORD src1_sel:BYTE_0
	v_cmp_gt_u32_e64 s0, 9, v158
	s_waitcnt vmcnt(8) lgkmcnt(5)
	v_mul_f64 v[58:59], v[134:135], v[78:79]
	s_waitcnt vmcnt(7) lgkmcnt(4)
	v_mul_f64 v[31:32], v[144:145], v[82:83]
	s_waitcnt vmcnt(6)
	v_mul_f64 v[146:147], v[128:129], v[86:87]
	s_waitcnt vmcnt(5) lgkmcnt(3)
	v_mul_f64 v[148:149], v[136:137], v[101:102]
	v_mul_f64 v[50:51], v[70:71], v[44:45]
	;; [unrolled: 1-line block ×5, first 2 shown]
	s_waitcnt vmcnt(4) lgkmcnt(2)
	v_mul_f64 v[150:151], v[140:141], v[105:106]
	s_waitcnt vmcnt(3) lgkmcnt(1)
	v_mul_f64 v[152:153], v[18:19], v[109:110]
	s_waitcnt vmcnt(2)
	v_mul_f64 v[154:155], v[138:139], v[113:114]
	s_waitcnt vmcnt(1)
	;; [unrolled: 2-line block ×3, first 2 shown]
	v_mul_f64 v[160:161], v[142:143], v[126:127]
	v_mul_f64 v[68:69], v[6:7], v[68:69]
	;; [unrolled: 1-line block ×10, first 2 shown]
	v_fma_f64 v[62:63], v[36:37], v[76:77], v[58:59]
	v_fma_f64 v[64:65], v[54:55], v[80:81], v[31:32]
	v_mul_f64 v[113:114], v[28:29], v[113:114]
	v_mul_f64 v[117:118], v[34:35], v[117:118]
	v_fma_f64 v[52:53], v[22:23], v[42:43], v[50:51]
	v_fma_f64 v[22:23], v[24:25], v[46:47], v[56:57]
	;; [unrolled: 1-line block ×10, first 2 shown]
	v_fma_f64 v[72:73], v[72:73], v[46:47], -v[74:75]
	v_fma_f64 v[74:75], v[130:131], v[66:67], -v[68:69]
	;; [unrolled: 1-line block ×9, first 2 shown]
	v_add_f64 v[4:5], v[64:65], v[62:63]
	v_fma_f64 v[84:85], v[142:143], v[124:125], -v[126:127]
	v_fma_f64 v[78:79], v[138:139], v[111:112], -v[113:114]
	;; [unrolled: 1-line block ×3, first 2 shown]
	v_add_f64 v[36:37], v[0:1], v[64:65]
	v_add_f64 v[101:102], v[88:89], v[24:25]
	;; [unrolled: 1-line block ×4, first 2 shown]
	v_add_f64 v[38:39], v[64:65], -v[60:61]
	v_add_f64 v[28:29], v[58:59], v[54:55]
	v_add_f64 v[99:100], v[8:9], v[58:59]
	;; [unrolled: 1-line block ×4, first 2 shown]
	v_add_f64 v[40:41], v[62:63], -v[52:53]
	v_add_f64 v[46:47], v[60:61], -v[64:65]
	;; [unrolled: 1-line block ×13, first 2 shown]
	v_add_f64 v[36:37], v[36:37], v[60:61]
	v_add_f64 v[101:102], v[101:102], v[26:27]
	v_fma_f64 v[2:3], v[2:3], -0.5, v[0:1]
	v_fma_f64 v[0:1], v[4:5], -0.5, v[0:1]
	v_add_f64 v[4:5], v[82:83], -v[68:69]
	v_fma_f64 v[6:7], v[6:7], -0.5, v[8:9]
	v_fma_f64 v[8:9], v[28:29], -0.5, v[8:9]
	v_add_f64 v[28:29], v[80:81], -v[84:85]
	;; [unrolled: 3-line block ×3, first 2 shown]
	v_add_f64 v[99:100], v[99:100], v[48:49]
	v_add_f64 v[126:127], v[50:51], -v[56:57]
	v_add_f64 v[38:39], v[38:39], v[40:41]
	v_add_f64 v[36:37], v[36:37], v[52:53]
	v_fma_f64 v[128:129], v[42:43], s[6:7], v[2:3]
	v_fma_f64 v[130:131], v[44:45], s[16:17], v[0:1]
	;; [unrolled: 1-line block ×12, first 2 shown]
	v_add_f64 v[40:41], v[46:47], v[88:89]
	v_add_f64 v[88:89], v[111:112], v[113:114]
	;; [unrolled: 1-line block ×7, first 2 shown]
	v_add_nc_u32_e32 v99, 0x400, v91
	v_fma_f64 v[113:114], v[44:45], s[10:11], v[128:129]
	v_fma_f64 v[115:116], v[42:43], s[10:11], v[130:131]
	v_fma_f64 v[0:1], v[42:43], s[12:13], v[0:1]
	v_fma_f64 v[2:3], v[44:45], s[12:13], v[2:3]
	v_fma_f64 v[42:43], v[103:104], s[10:11], v[132:133]
	v_fma_f64 v[44:45], v[4:5], s[10:11], v[134:135]
	v_fma_f64 v[4:5], v[4:5], s[12:13], v[8:9]
	v_fma_f64 v[6:7], v[103:104], s[12:13], v[6:7]
	v_fma_f64 v[8:9], v[105:106], s[10:11], v[136:137]
	v_fma_f64 v[102:103], v[28:29], s[10:11], v[138:139]
	v_fma_f64 v[28:29], v[28:29], s[12:13], v[34:35]
	v_fma_f64 v[31:32], v[105:106], s[12:13], v[31:32]
	v_mov_b32_e32 v104, 0x438
	v_add_f64 v[34:35], v[111:112], v[54:55]
	v_mul_u32_u24_sdwa v117, v13, v104 dst_sel:DWORD dst_unused:UNUSED_PAD src0_sel:WORD_0 src1_sel:DWORD
	v_mul_u32_u24_sdwa v118, v14, v104 dst_sel:DWORD dst_unused:UNUSED_PAD src0_sel:WORD_0 src1_sel:DWORD
	v_add_f64 v[13:14], v[36:37], v[62:63]
	v_add_f64 v[36:37], v[100:101], v[56:57]
	v_mul_u32_u24_sdwa v10, v10, v104 dst_sel:DWORD dst_unused:UNUSED_PAD src0_sel:WORD_0 src1_sel:DWORD
	v_fma_f64 v[105:106], v[38:39], s[18:19], v[113:114]
	v_fma_f64 v[111:112], v[40:41], s[18:19], v[115:116]
	;; [unrolled: 1-line block ×12, first 2 shown]
	v_add3_u32 v104, 0, v117, v11
	v_add3_u32 v103, 0, v118, v12
	v_add_nc_u32_e32 v101, 0xc00, v91
	v_add_nc_u32_e32 v100, 0x1400, v91
	v_add3_u32 v102, 0, v10, v15
	ds_read_b64 v[88:89], v30
	s_waitcnt lgkmcnt(0)
	s_barrier
	buffer_gl0_inv
	ds_write2_b64 v104, v[13:14], v[105:106] offset1:27
	ds_write2_b64 v104, v[111:112], v[0:1] offset0:54 offset1:81
	ds_write_b64 v104, v[2:3] offset:864
	ds_write2_b64 v103, v[34:35], v[38:39] offset1:27
	ds_write2_b64 v103, v[40:41], v[4:5] offset0:54 offset1:81
	ds_write_b64 v103, v[6:7] offset:864
	ds_write2_b64 v102, v[36:37], v[8:9] offset1:27
	ds_write2_b64 v102, v[42:43], v[28:29] offset0:54 offset1:81
	ds_write_b64 v102, v[124:125] offset:864
	s_waitcnt lgkmcnt(0)
	s_barrier
	buffer_gl0_inv
	ds_read_b64 v[128:129], v30
	ds_read_b64 v[130:131], v91 offset:6984
	ds_read2_b64 v[12:15], v91 offset1:135
	ds_read2_b64 v[28:31], v99 offset0:70 offset1:142
	ds_read2_b64 v[36:39], v93 offset0:77 offset1:149
	;; [unrolled: 1-line block ×5, first 2 shown]
	v_sub_nc_u32_e32 v0, 0, v98
                                        ; implicit-def: $vgpr6_vgpr7
                                        ; implicit-def: $vgpr2_vgpr3
                                        ; implicit-def: $vgpr10_vgpr11
	v_add_nc_u32_e32 v95, v95, v0
	s_and_saveexec_b32 s1, s0
	s_cbranch_execz .LBB0_15
; %bb.14:
	ds_read_b64 v[124:125], v95
	ds_read2_b64 v[8:11], v93 offset0:5 offset1:140
	ds_read2_b64 v[0:3], v94 offset0:19 offset1:154
	;; [unrolled: 1-line block ×3, first 2 shown]
.LBB0_15:
	s_or_b32 exec_lo, exec_lo, s1
	v_add_f64 v[97:98], v[74:75], v[70:71]
	v_add_f64 v[105:106], v[86:87], v[66:67]
	;; [unrolled: 1-line block ×7, first 2 shown]
	v_add_f64 v[62:63], v[64:65], -v[62:63]
	v_add_f64 v[52:53], v[60:61], -v[52:53]
	v_add_f64 v[117:118], v[88:89], v[82:83]
	v_add_f64 v[126:127], v[20:21], v[80:81]
	v_add_f64 v[54:55], v[58:59], -v[54:55]
	v_add_f64 v[22:23], v[48:49], -v[22:23]
	;; [unrolled: 1-line block ×8, first 2 shown]
	s_waitcnt lgkmcnt(0)
	s_barrier
	buffer_gl0_inv
	v_fma_f64 v[97:98], v[97:98], -0.5, v[16:17]
	v_fma_f64 v[16:17], v[105:106], -0.5, v[16:17]
	;; [unrolled: 1-line block ×6, first 2 shown]
	v_add_f64 v[74:75], v[115:116], v[74:75]
	v_add_f64 v[88:89], v[82:83], -v[76:77]
	v_add_f64 v[82:83], v[76:77], -v[82:83]
	v_add_f64 v[76:77], v[117:118], v[76:77]
	v_add_f64 v[105:106], v[68:69], -v[72:73]
	v_add_f64 v[109:110], v[80:81], -v[78:79]
	;; [unrolled: 1-line block ×3, first 2 shown]
	v_add_f64 v[78:79], v[126:127], v[78:79]
	v_add_f64 v[107:108], v[72:73], -v[68:69]
	v_add_f64 v[111:112], v[84:85], -v[18:19]
	;; [unrolled: 1-line block ×3, first 2 shown]
	v_add_f64 v[60:61], v[60:61], v[64:65]
	v_add_f64 v[58:59], v[86:87], v[58:59]
	v_fma_f64 v[115:116], v[62:63], s[16:17], v[97:98]
	v_fma_f64 v[97:98], v[62:63], s[6:7], v[97:98]
	;; [unrolled: 1-line block ×12, first 2 shown]
	v_add_f64 v[70:71], v[74:75], v[70:71]
	v_add_f64 v[72:73], v[76:77], v[72:73]
	;; [unrolled: 1-line block ×7, first 2 shown]
	v_fma_f64 v[74:75], v[52:53], s[12:13], v[115:116]
	v_fma_f64 v[52:53], v[52:53], s[10:11], v[97:98]
	;; [unrolled: 1-line block ×12, first 2 shown]
	v_add_f64 v[26:27], v[70:71], v[66:67]
	v_add_f64 v[50:51], v[72:73], v[68:69]
	;; [unrolled: 1-line block ×3, first 2 shown]
	v_fma_f64 v[66:67], v[60:61], s[18:19], v[74:75]
	v_fma_f64 v[52:53], v[60:61], s[18:19], v[52:53]
	;; [unrolled: 1-line block ×12, first 2 shown]
	v_add_nc_u32_e32 v24, v92, v96
	ds_write2_b64 v104, v[26:27], v[66:67] offset1:27
	ds_write2_b64 v104, v[60:61], v[16:17] offset0:54 offset1:81
	ds_write_b64 v104, v[52:53] offset:864
	ds_write2_b64 v103, v[50:51], v[58:59] offset1:27
	ds_write2_b64 v103, v[48:49], v[54:55] offset0:54 offset1:81
	ds_write_b64 v103, v[22:23] offset:864
	;; [unrolled: 3-line block ×3, first 2 shown]
	s_waitcnt lgkmcnt(0)
	s_barrier
	buffer_gl0_inv
	ds_read2_b64 v[48:51], v91 offset1:135
	ds_read2_b64 v[52:55], v99 offset0:70 offset1:142
	ds_read2_b64 v[64:67], v93 offset0:77 offset1:149
	;; [unrolled: 1-line block ×5, first 2 shown]
	ds_read_b64 v[132:133], v24
	ds_read_b64 v[134:135], v91 offset:6984
                                        ; implicit-def: $vgpr22_vgpr23
                                        ; implicit-def: $vgpr18_vgpr19
                                        ; implicit-def: $vgpr26_vgpr27
	s_and_saveexec_b32 s1, s0
	s_cbranch_execz .LBB0_17
; %bb.16:
	v_add_nc_u32_e32 v16, 0x800, v91
	v_add_nc_u32_e32 v17, 0x1000, v91
	;; [unrolled: 1-line block ×3, first 2 shown]
	ds_read_b64 v[126:127], v95
	ds_read2_b64 v[24:27], v16 offset0:5 offset1:140
	ds_read2_b64 v[16:19], v17 offset0:19 offset1:154
	;; [unrolled: 1-line block ×3, first 2 shown]
.LBB0_17:
	s_or_b32 exec_lo, exec_lo, s1
	s_and_saveexec_b32 s1, vcc_lo
	s_cbranch_execz .LBB0_20
; %bb.18:
	v_mul_u32_u24_e32 v72, 6, v158
	v_mul_i32_i24_e32 v136, 6, v90
	v_mov_b32_e32 v137, 0
	v_mul_lo_u32 v138, s4, v123
	v_add_nc_u32_e32 v139, 63, v158
	v_lshlrev_b32_e32 v72, 4, v72
	v_mul_hi_u32 v140, 0xf2b9d649, v158
	v_lshlrev_b64 v[120:121], 4, v[120:121]
	s_mov_b32 s12, 0xe976ee23
	v_mul_hi_u32 v141, 0xf2b9d649, v139
	v_add_co_u32 v80, s1, s8, v72
	v_add_co_ci_u32_e64 v81, null, s9, 0, s1
	v_lshlrev_b64 v[72:73], 4, v[136:137]
	v_add_co_u32 v88, vcc_lo, 0x840, v80
	v_add_co_ci_u32_e32 v89, vcc_lo, 0, v81, vcc_lo
	v_mul_lo_u32 v136, s5, v122
	v_add_co_u32 v102, vcc_lo, s8, v72
	v_add_co_ci_u32_e32 v103, vcc_lo, s9, v73, vcc_lo
	s_clause 0x1
	global_load_dwordx4 v[72:75], v[88:89], off offset:48
	global_load_dwordx4 v[76:79], v[88:89], off offset:32
	v_add_co_u32 v90, vcc_lo, 0x840, v102
	v_add_co_ci_u32_e32 v91, vcc_lo, 0, v103, vcc_lo
	v_add_co_u32 v92, vcc_lo, 0x800, v80
	v_add_co_ci_u32_e32 v93, vcc_lo, 0, v81, vcc_lo
	;; [unrolled: 2-line block ×3, first 2 shown]
	s_clause 0x5
	global_load_dwordx4 v[84:87], v[90:91], off offset:32
	global_load_dwordx4 v[80:83], v[90:91], off offset:16
	;; [unrolled: 1-line block ×6, first 2 shown]
	v_add_co_u32 v100, vcc_lo, 0x800, v102
	v_add_co_ci_u32_e32 v101, vcc_lo, 0, v103, vcc_lo
	v_add_co_u32 v108, vcc_lo, 0x880, v102
	v_add_co_ci_u32_e32 v109, vcc_lo, 0, v103, vcc_lo
	s_clause 0x3
	global_load_dwordx4 v[88:91], v[90:91], off offset:48
	global_load_dwordx4 v[92:95], v[100:101], off offset:128
	;; [unrolled: 1-line block ×4, first 2 shown]
	v_mad_u64_u32 v[122:123], null, s4, v122, 0
	v_lshrrev_b32_e32 v150, 7, v141
	s_mov_b32 s10, 0x36b3c0b5
	s_mov_b32 s26, 0x37e14327
	;; [unrolled: 1-line block ×5, first 2 shown]
	v_add3_u32 v123, v123, v138, v136
	v_lshrrev_b32_e32 v136, 7, v140
	v_mul_lo_u32 v138, 0x87, v150
	s_mov_b32 s27, 0x3fe948f6
	s_mov_b32 s23, 0xbfebfeb5
	v_lshlrev_b64 v[122:123], 4, v[122:123]
	v_mul_lo_u32 v136, 0x87, v136
	s_mov_b32 s6, 0xb247c609
	s_mov_b32 s16, 0xaaaaaaaa
	s_mov_b32 s20, 0x5476071b
	s_mov_b32 s7, 0xbfd5d0dc
	v_add_co_u32 v122, s1, s14, v122
	v_add_co_ci_u32_e64 v123, s1, s15, v123, s1
	v_sub_nc_u32_e32 v136, v158, v136
	v_add_co_u32 v160, s1, v122, v120
	v_sub_nc_u32_e32 v122, v139, v138
	v_add_co_ci_u32_e64 v161, s1, v123, v121, s1
	v_add_nc_u32_e32 v153, 0x87, v136
	v_add_nc_u32_e32 v155, 0x10e, v136
	;; [unrolled: 1-line block ×5, first 2 shown]
	v_mad_u64_u32 v[120:121], null, s2, v136, 0
	v_mad_u64_u32 v[138:139], null, s2, v153, 0
	;; [unrolled: 1-line block ×5, first 2 shown]
	v_add_nc_u32_e32 v157, 0x21c, v136
	v_mad_u64_u32 v[142:143], null, s2, v156, 0
	v_mad_u64_u32 v[148:149], null, s2, v165, 0
	;; [unrolled: 1-line block ×4, first 2 shown]
	v_mov_b32_e32 v121, v139
	v_mov_b32_e32 v123, v141
	;; [unrolled: 1-line block ×5, first 2 shown]
	v_add_nc_u32_e32 v177, 0x87, v122
	v_mad_u64_u32 v[151:152], null, s2, v122, 0
	v_mad_u64_u32 v[153:154], null, s3, v153, v[121:122]
	;; [unrolled: 1-line block ×3, first 2 shown]
	v_add_nc_u32_e32 v180, 0x21c, v122
	v_add_nc_u32_e32 v181, 0x2a3, v122
	v_mad_u64_u32 v[164:165], null, s3, v165, v[143:144]
	v_mov_b32_e32 v139, v145
	v_mad_u64_u32 v[165:166], null, s2, v177, 0
	v_add_nc_u32_e32 v178, 0x10e, v122
	v_mad_u64_u32 v[154:155], null, s3, v155, v[123:124]
	v_add_nc_u32_e32 v179, 0x195, v122
	v_add_nc_u32_e32 v182, 0x32a, v122
	v_mov_b32_e32 v121, v150
	v_mad_u64_u32 v[155:156], null, s3, v156, v[136:137]
	v_mad_u64_u32 v[171:172], null, s2, v180, 0
	;; [unrolled: 1-line block ×3, first 2 shown]
	v_mov_b32_e32 v123, v152
	v_mad_u64_u32 v[156:157], null, s3, v157, v[139:140]
	v_mad_u64_u32 v[167:168], null, s2, v178, 0
	v_mov_b32_e32 v139, v153
	v_mad_u64_u32 v[169:170], null, s2, v179, 0
	v_mad_u64_u32 v[175:176], null, s2, v182, 0
	v_mov_b32_e32 v136, v166
	v_lshlrev_b64 v[120:121], 4, v[120:121]
	v_mov_b32_e32 v141, v154
	v_mad_u64_u32 v[122:123], null, s3, v122, v[123:124]
	v_lshlrev_b64 v[138:139], 4, v[138:139]
	v_mov_b32_e32 v143, v155
	v_mov_b32_e32 v152, v172
	;; [unrolled: 1-line block ×4, first 2 shown]
	v_mad_u64_u32 v[155:156], null, s3, v177, v[136:137]
	v_mov_b32_e32 v123, v168
	v_lshlrev_b64 v[140:141], 4, v[140:141]
	v_add_co_u32 v120, s1, v160, v120
	v_mov_b32_e32 v150, v170
	v_mov_b32_e32 v154, v176
	v_add_co_ci_u32_e64 v121, s1, v161, v121, s1
	v_mad_u64_u32 v[176:177], null, s3, v180, v[152:153]
	v_lshlrev_b64 v[142:143], 4, v[142:143]
	v_mov_b32_e32 v152, v122
	v_add_co_u32 v122, s1, v160, v138
	v_mov_b32_e32 v147, v163
	v_mad_u64_u32 v[156:157], null, s3, v178, v[123:124]
	v_add_co_ci_u32_e64 v123, s1, v161, v139, s1
	v_lshlrev_b64 v[144:145], 4, v[144:145]
	v_add_co_u32 v138, s1, v160, v140
	v_mov_b32_e32 v149, v164
	v_mad_u64_u32 v[163:164], null, s3, v179, v[150:151]
	v_mad_u64_u32 v[177:178], null, s3, v181, v[153:154]
	;; [unrolled: 1-line block ×3, first 2 shown]
	v_add_co_ci_u32_e64 v139, s1, v161, v141, s1
	v_lshlrev_b64 v[146:147], 4, v[146:147]
	v_add_co_u32 v140, s1, v160, v142
	v_add_co_ci_u32_e64 v141, s1, v161, v143, s1
	v_lshlrev_b64 v[148:149], 4, v[148:149]
	v_add_co_u32 v142, s1, v160, v144
	v_add_co_ci_u32_e64 v143, s1, v161, v145, s1
	v_add_co_u32 v144, s1, v160, v146
	v_mov_b32_e32 v166, v155
	v_mov_b32_e32 v168, v156
	v_mov_b32_e32 v170, v163
	v_mov_b32_e32 v172, v176
	v_mov_b32_e32 v174, v177
	v_mov_b32_e32 v176, v153
	v_add_co_ci_u32_e64 v145, s1, v161, v147, s1
	v_add_co_u32 v146, s1, v160, v148
	v_add_co_ci_u32_e64 v147, s1, v161, v149, s1
	v_lshlrev_b64 v[148:149], 4, v[151:152]
	v_lshlrev_b64 v[150:151], 4, v[165:166]
	;; [unrolled: 1-line block ×7, first 2 shown]
	s_mov_b32 s17, 0xbff2aaaa
	s_mov_b32 s19, 0x3fd5d0dc
	;; [unrolled: 1-line block ×8, first 2 shown]
	v_add_co_u32 v148, s1, v160, v148
	v_add_co_ci_u32_e64 v149, s1, v161, v149, s1
	v_add_co_u32 v150, s1, v160, v150
	v_add_co_ci_u32_e64 v151, s1, v161, v151, s1
	;; [unrolled: 2-line block ×3, first 2 shown]
	v_add_nc_u32_e32 v162, 0x7e, v158
	v_cmp_gt_u32_e32 vcc_lo, 0x87, v162
	s_waitcnt vmcnt(11)
	v_mul_f64 v[167:168], v[46:47], v[72:73]
	v_mul_f64 v[46:47], v[46:47], v[74:75]
	s_waitcnt vmcnt(10)
	v_mul_f64 v[169:170], v[38:39], v[76:77]
	v_mul_f64 v[38:39], v[38:39], v[78:79]
	;; [unrolled: 3-line block ×5, first 2 shown]
	v_mul_f64 v[175:176], v[14:15], v[96:97]
	v_mul_f64 v[14:15], v[14:15], v[98:99]
	s_waitcnt vmcnt(4)
	v_mul_f64 v[177:178], v[34:35], v[104:105]
	v_mul_f64 v[34:35], v[34:35], v[106:107]
	v_mul_f64 v[181:182], v[36:37], v[80:81]
	v_mul_f64 v[36:37], v[36:37], v[82:83]
	s_waitcnt vmcnt(2)
	v_mul_f64 v[185:186], v[32:33], v[92:93]
	v_mul_f64 v[32:33], v[32:33], v[94:95]
	s_waitcnt vmcnt(1)
	v_mul_f64 v[187:188], v[28:29], v[100:101]
	s_waitcnt vmcnt(0)
	v_mul_f64 v[189:190], v[130:131], v[108:109]
	v_mul_f64 v[28:29], v[28:29], v[102:103]
	v_mul_f64 v[130:131], v[130:131], v[110:111]
	v_mul_f64 v[183:184], v[40:41], v[88:89]
	s_waitcnt lgkmcnt(4)
	v_fma_f64 v[74:75], v[70:71], v[74:75], v[167:168]
	v_fma_f64 v[46:47], v[70:71], v[72:73], -v[46:47]
	v_fma_f64 v[70:71], v[66:67], v[78:79], v[169:170]
	v_mul_f64 v[40:41], v[40:41], v[90:91]
	v_fma_f64 v[38:39], v[66:67], v[76:77], -v[38:39]
	v_fma_f64 v[72:73], v[54:55], v[114:115], v[171:172]
	v_fma_f64 v[30:31], v[54:55], v[112:113], -v[30:31]
	s_waitcnt lgkmcnt(3)
	v_fma_f64 v[54:55], v[58:59], v[118:119], v[173:174]
	v_fma_f64 v[42:43], v[58:59], v[116:117], -v[42:43]
	v_fma_f64 v[58:59], v[50:51], v[98:99], v[175:176]
	v_fma_f64 v[14:15], v[50:51], v[96:97], -v[14:15]
	s_waitcnt lgkmcnt(2)
	v_fma_f64 v[78:79], v[62:63], v[106:107], v[177:178]
	v_fma_f64 v[34:35], v[62:63], v[104:105], -v[34:35]
	v_fma_f64 v[50:51], v[68:69], v[86:87], v[179:180]
	v_fma_f64 v[44:45], v[68:69], v[84:85], -v[44:45]
	;; [unrolled: 2-line block ×3, first 2 shown]
	v_fma_f64 v[66:67], v[60:61], v[94:95], v[185:186]
	v_fma_f64 v[68:69], v[52:53], v[102:103], v[187:188]
	s_waitcnt lgkmcnt(0)
	v_fma_f64 v[76:77], v[134:135], v[110:111], v[189:190]
	v_fma_f64 v[32:33], v[60:61], v[92:93], -v[32:33]
	v_fma_f64 v[28:29], v[52:53], v[100:101], -v[28:29]
	;; [unrolled: 1-line block ×3, first 2 shown]
	v_fma_f64 v[64:65], v[56:57], v[90:91], v[183:184]
	v_add_co_u32 v80, s1, v160, v165
	v_fma_f64 v[40:41], v[56:57], v[88:89], -v[40:41]
	v_add_f64 v[56:57], v[74:75], -v[70:71]
	v_add_f64 v[70:71], v[74:75], v[70:71]
	v_add_f64 v[60:61], v[72:73], -v[54:55]
	v_add_f64 v[84:85], v[30:31], v[42:43]
	v_add_f64 v[54:55], v[72:73], v[54:55]
	;; [unrolled: 1-line block ×3, first 2 shown]
	v_add_f64 v[82:83], v[58:59], -v[78:79]
	v_add_f64 v[86:87], v[14:15], v[34:35]
	v_add_f64 v[58:59], v[58:59], v[78:79]
	v_add_f64 v[38:39], v[46:47], -v[38:39]
	v_add_f64 v[30:31], v[30:31], -v[42:43]
	;; [unrolled: 1-line block ×4, first 2 shown]
	v_add_f64 v[62:63], v[62:63], v[66:67]
	v_add_f64 v[66:67], v[68:69], v[76:77]
	;; [unrolled: 1-line block ×3, first 2 shown]
	v_add_f64 v[46:47], v[68:69], -v[76:77]
	v_add_f64 v[78:79], v[28:29], v[52:53]
	v_add_f64 v[34:35], v[64:65], -v[50:51]
	v_add_f64 v[50:51], v[64:65], v[50:51]
	;; [unrolled: 2-line block ×3, first 2 shown]
	v_add_f64 v[40:41], v[40:41], -v[44:45]
	v_add_f64 v[32:33], v[36:37], -v[32:33]
	v_add_f64 v[36:37], v[56:57], v[60:61]
	v_add_f64 v[44:45], v[56:57], -v[60:61]
	v_add_f64 v[90:91], v[70:71], -v[54:55]
	;; [unrolled: 1-line block ×4, first 2 shown]
	v_add_f64 v[52:53], v[84:85], v[86:87]
	v_add_f64 v[64:65], v[54:55], v[58:59]
	v_add_f64 v[76:77], v[86:87], -v[72:73]
	v_add_f64 v[92:93], v[58:59], -v[70:71]
	v_add_f64 v[94:95], v[38:39], v[30:31]
	v_add_f64 v[96:97], v[38:39], -v[30:31]
	v_add_f64 v[84:85], v[84:85], -v[86:87]
	v_add_f64 v[54:55], v[54:55], -v[58:59]
	v_add_f64 v[58:59], v[30:31], -v[14:15]
	v_add_f64 v[86:87], v[62:63], v[66:67]
	v_add_f64 v[30:31], v[74:75], v[78:79]
	;; [unrolled: 1-line block ×3, first 2 shown]
	v_add_f64 v[100:101], v[34:35], -v[42:43]
	v_add_f64 v[104:105], v[50:51], -v[62:63]
	;; [unrolled: 1-line block ×7, first 2 shown]
	v_add_f64 v[66:67], v[40:41], v[32:33]
	v_add_f64 v[42:43], v[42:43], -v[46:47]
	v_add_f64 v[56:57], v[82:83], -v[56:57]
	v_add_f64 v[52:53], v[72:73], v[52:53]
	v_add_f64 v[64:65], v[70:71], v[64:65]
	v_add_f64 v[70:71], v[40:41], -v[32:33]
	v_add_f64 v[32:33], v[32:33], -v[28:29]
	;; [unrolled: 1-line block ×3, first 2 shown]
	v_add_f64 v[36:37], v[36:37], v[82:83]
	v_mul_f64 v[72:73], v[76:77], s[26:27]
	v_mul_f64 v[76:77], v[68:69], s[10:11]
	v_mul_f64 v[44:45], v[44:45], s[12:13]
	v_add_f64 v[50:51], v[50:51], v[86:87]
	v_add_f64 v[88:89], v[88:89], v[30:31]
	v_mul_f64 v[82:83], v[92:93], s[26:27]
	v_mul_f64 v[92:93], v[60:61], s[22:23]
	v_add_f64 v[94:95], v[94:95], v[14:15]
	v_mul_f64 v[108:109], v[58:59], s[22:23]
	v_mul_f64 v[86:87], v[96:97], s[12:13]
	;; [unrolled: 1-line block ×3, first 2 shown]
	v_add_f64 v[34:35], v[46:47], -v[34:35]
	v_add_f64 v[40:41], v[28:29], -v[40:41]
	v_add_f64 v[46:47], v[98:99], v[46:47]
	v_mul_f64 v[98:99], v[100:101], s[12:13]
	v_mul_f64 v[100:101], v[102:103], s[10:11]
	v_add_f64 v[14:15], v[48:49], v[52:53]
	v_add_f64 v[12:13], v[12:13], v[64:65]
	v_mul_f64 v[78:79], v[78:79], s[26:27]
	v_mul_f64 v[48:49], v[106:107], s[26:27]
	v_add_f64 v[66:67], v[66:67], v[28:29]
	v_mul_f64 v[70:71], v[70:71], s[12:13]
	v_mul_f64 v[106:107], v[42:43], s[22:23]
	;; [unrolled: 1-line block ×4, first 2 shown]
	v_add_f64 v[28:29], v[128:129], v[50:51]
	v_add_f64 v[30:31], v[132:133], v[88:89]
	v_fma_f64 v[68:69], v[68:69], s[10:11], v[72:73]
	v_fma_f64 v[72:73], v[84:85], s[20:21], -v[72:73]
	v_fma_f64 v[76:77], v[84:85], s[24:25], -v[76:77]
	;; [unrolled: 1-line block ×3, first 2 shown]
	v_fma_f64 v[56:57], v[56:57], s[6:7], v[44:45]
	v_fma_f64 v[92:93], v[38:39], s[18:19], -v[108:109]
	v_fma_f64 v[38:39], v[38:39], s[6:7], v[86:87]
	v_fma_f64 v[90:91], v[90:91], s[10:11], v[82:83]
	v_fma_f64 v[82:83], v[54:55], s[20:21], -v[82:83]
	v_fma_f64 v[44:45], v[60:61], s[22:23], -v[44:45]
	;; [unrolled: 1-line block ×4, first 2 shown]
	v_fma_f64 v[52:53], v[52:53], s[16:17], v[14:15]
	v_fma_f64 v[60:61], v[64:65], s[16:17], v[12:13]
	;; [unrolled: 1-line block ×6, first 2 shown]
	v_fma_f64 v[34:35], v[34:35], s[18:19], -v[106:107]
	v_fma_f64 v[78:79], v[74:75], s[20:21], -v[78:79]
	;; [unrolled: 1-line block ×4, first 2 shown]
	v_fma_f64 v[70:71], v[88:89], s[16:17], v[30:31]
	v_fma_f64 v[74:75], v[74:75], s[24:25], -v[100:101]
	v_fma_f64 v[50:51], v[50:51], s[16:17], v[28:29]
	v_fma_f64 v[48:49], v[62:63], s[20:21], -v[48:49]
	v_fma_f64 v[40:41], v[40:41], s[18:19], -v[110:111]
	;; [unrolled: 1-line block ×3, first 2 shown]
	v_fma_f64 v[56:57], v[36:37], s[4:5], v[56:57]
	v_fma_f64 v[88:89], v[94:95], s[4:5], v[38:39]
	;; [unrolled: 1-line block ×6, first 2 shown]
	v_add_f64 v[68:69], v[68:69], v[52:53]
	v_add_f64 v[90:91], v[90:91], v[60:61]
	;; [unrolled: 1-line block ×6, first 2 shown]
	v_fma_f64 v[60:61], v[46:47], s[4:5], v[64:65]
	v_fma_f64 v[94:95], v[66:67], s[4:5], v[102:103]
	;; [unrolled: 1-line block ×4, first 2 shown]
	v_add_f64 v[86:87], v[86:87], v[70:71]
	v_add_f64 v[78:79], v[78:79], v[70:71]
	;; [unrolled: 1-line block ×4, first 2 shown]
	v_fma_f64 v[98:99], v[66:67], s[4:5], v[40:41]
	v_add_f64 v[102:103], v[48:49], v[50:51]
	v_fma_f64 v[100:101], v[66:67], s[4:5], v[32:33]
	v_add_f64 v[104:105], v[62:63], v[50:51]
	v_add_co_ci_u32_e64 v81, s1, v161, v166, s1
	v_add_co_u32 v106, s1, v160, v156
	v_add_f64 v[34:35], v[56:57], v[68:69]
	v_add_f64 v[32:33], v[90:91], -v[88:89]
	v_add_f64 v[50:51], v[72:73], -v[84:85]
	v_add_f64 v[42:43], v[52:53], -v[44:45]
	v_add_f64 v[40:41], v[58:59], v[54:55]
	v_add_f64 v[46:47], v[44:45], v[52:53]
	v_add_f64 v[44:45], v[54:55], -v[58:59]
	v_add_f64 v[54:55], v[68:69], -v[56:57]
	v_add_f64 v[52:53], v[88:89], v[90:91]
	v_add_f64 v[48:49], v[92:93], v[82:83]
	v_add_f64 v[38:39], v[84:85], v[72:73]
	v_add_f64 v[36:37], v[82:83], -v[92:93]
	v_add_f64 v[62:63], v[64:65], v[78:79]
	v_add_f64 v[66:67], v[70:71], -v[76:77]
	v_add_f64 v[70:71], v[76:77], v[70:71]
	v_add_f64 v[74:75], v[78:79], -v[64:65]
	v_add_f64 v[78:79], v[86:87], -v[60:61]
	v_add_f64 v[76:77], v[94:95], v[96:97]
	v_add_f64 v[72:73], v[98:99], v[102:103]
	v_add_f64 v[68:69], v[104:105], -v[100:101]
	v_add_f64 v[64:65], v[100:101], v[104:105]
	v_add_f64 v[58:59], v[60:61], v[86:87]
	v_add_f64 v[60:61], v[102:103], -v[98:99]
	v_add_f64 v[56:57], v[96:97], -v[94:95]
	v_add_co_ci_u32_e64 v107, s1, v161, v157, s1
	v_add_co_u32 v82, s1, v160, v154
	v_add_co_ci_u32_e64 v83, s1, v161, v155, s1
	v_add_co_u32 v84, s1, v160, v152
	v_add_co_ci_u32_e64 v85, s1, v161, v153, s1
	global_store_dwordx4 v[120:121], v[12:15], off
	global_store_dwordx4 v[122:123], v[52:55], off
	;; [unrolled: 1-line block ×14, first 2 shown]
	s_and_b32 exec_lo, exec_lo, vcc_lo
	s_cbranch_execz .LBB0_20
; %bb.19:
	v_add_nc_u32_e32 v12, -9, v158
	v_add_nc_u32_e32 v61, 0x213, v158
	v_add_nc_u32_e32 v66, 0x29a, v158
	;; [unrolled: 1-line block ×4, first 2 shown]
	v_cndmask_b32_e64 v12, v12, v159, s0
	v_mul_i32_i24_e32 v136, 6, v12
	v_lshlrev_b64 v[12:13], 4, v[136:137]
	v_add_co_u32 v12, vcc_lo, s8, v12
	v_add_co_ci_u32_e32 v13, vcc_lo, s9, v13, vcc_lo
	v_add_co_u32 v44, vcc_lo, 0x840, v12
	v_add_co_ci_u32_e32 v45, vcc_lo, 0, v13, vcc_lo
	;; [unrolled: 2-line block ×4, first 2 shown]
	s_clause 0x5
	global_load_dwordx4 v[12:15], v[36:37], off offset:64
	global_load_dwordx4 v[28:31], v[44:45], off offset:16
	global_load_dwordx4 v[32:35], v[32:33], off offset:16
	global_load_dwordx4 v[36:39], v[36:37], off offset:128
	global_load_dwordx4 v[40:43], v[44:45], off offset:32
	global_load_dwordx4 v[44:47], v[44:45], off offset:48
	s_waitcnt vmcnt(5)
	v_mul_f64 v[48:49], v[24:25], v[14:15]
	v_mul_f64 v[14:15], v[8:9], v[14:15]
	s_waitcnt vmcnt(4)
	v_mul_f64 v[50:51], v[26:27], v[30:31]
	v_mul_f64 v[30:31], v[10:11], v[30:31]
	s_waitcnt vmcnt(3)
	v_mul_f64 v[52:53], v[22:23], v[34:35]
	v_mul_f64 v[34:35], v[6:7], v[34:35]
	s_waitcnt vmcnt(2)
	v_mul_f64 v[54:55], v[20:21], v[38:39]
	v_mul_f64 v[38:39], v[4:5], v[38:39]
	s_waitcnt vmcnt(1)
	v_mul_f64 v[56:57], v[16:17], v[42:43]
	v_mul_f64 v[42:43], v[0:1], v[42:43]
	s_waitcnt vmcnt(0)
	v_mul_f64 v[58:59], v[18:19], v[46:47]
	v_mul_f64 v[46:47], v[2:3], v[46:47]
	v_fma_f64 v[8:9], v[8:9], v[12:13], v[48:49]
	v_fma_f64 v[12:13], v[24:25], v[12:13], -v[14:15]
	v_fma_f64 v[10:11], v[10:11], v[28:29], v[50:51]
	v_fma_f64 v[14:15], v[26:27], v[28:29], -v[30:31]
	;; [unrolled: 2-line block ×6, first 2 shown]
	v_mad_u64_u32 v[24:25], null, s2, v162, 0
	v_add_nc_u32_e32 v55, 0x105, v158
	v_add_nc_u32_e32 v57, 0x18c, v158
	v_mad_u64_u32 v[36:37], null, s2, v66, 0
	v_mad_u64_u32 v[38:39], null, s2, v68, 0
	v_mad_u64_u32 v[34:35], null, s2, v55, 0
	v_mad_u64_u32 v[40:41], null, s2, v69, 0
	v_add_f64 v[26:27], v[8:9], v[6:7]
	v_add_f64 v[28:29], v[12:13], v[22:23]
	;; [unrolled: 1-line block ×4, first 2 shown]
	v_add_f64 v[4:5], v[10:11], -v[4:5]
	v_add_f64 v[10:11], v[14:15], -v[20:21]
	;; [unrolled: 1-line block ×3, first 2 shown]
	v_add_f64 v[20:21], v[16:17], v[18:19]
	v_add_f64 v[8:9], v[12:13], -v[22:23]
	v_add_f64 v[14:15], v[0:1], v[2:3]
	v_add_f64 v[0:1], v[2:3], -v[0:1]
	v_add_f64 v[2:3], v[18:19], -v[16:17]
	v_mad_u64_u32 v[16:17], null, s2, v57, 0
	v_mad_u64_u32 v[18:19], null, s2, v61, 0
	;; [unrolled: 1-line block ×3, first 2 shown]
	v_add_f64 v[12:13], v[30:31], v[26:27]
	v_add_f64 v[22:23], v[32:33], v[28:29]
	v_mov_b32_e32 v25, v35
	v_mov_b32_e32 v35, v37
	v_add_f64 v[51:52], v[4:5], -v[6:7]
	v_add_f64 v[45:46], v[28:29], -v[20:21]
	;; [unrolled: 1-line block ×6, first 2 shown]
	v_mad_u64_u32 v[55:56], null, s3, v55, v[25:26]
	v_mad_u64_u32 v[56:57], null, s3, v57, v[17:18]
	v_add_f64 v[4:5], v[0:1], v[4:5]
	v_add_f64 v[10:11], v[2:3], v[10:11]
	v_add_f64 v[57:58], v[6:7], -v[0:1]
	v_add_f64 v[59:60], v[8:9], -v[2:3]
	v_add_f64 v[26:27], v[30:31], -v[26:27]
	v_add_f64 v[28:29], v[32:33], -v[28:29]
	v_mov_b32_e32 v25, v42
	v_mad_u64_u32 v[66:67], null, s3, v66, v[35:36]
	v_add_f64 v[22:23], v[20:21], v[22:23]
	v_add_f64 v[20:21], v[20:21], -v[32:33]
	v_add_f64 v[12:13], v[14:15], v[12:13]
	v_add_f64 v[14:15], v[14:15], -v[30:31]
	v_mul_f64 v[45:46], v[45:46], s[26:27]
	v_mul_f64 v[30:31], v[51:52], s[22:23]
	;; [unrolled: 1-line block ×5, first 2 shown]
	v_mov_b32_e32 v35, v55
	v_mov_b32_e32 v17, v56
	v_lshlrev_b64 v[24:25], 4, v[24:25]
	v_mov_b32_e32 v37, v39
	v_add_f64 v[4:5], v[4:5], v[6:7]
	v_add_f64 v[6:7], v[10:11], v[8:9]
	v_mov_b32_e32 v39, v41
	v_lshlrev_b64 v[16:17], 4, v[16:17]
	v_mad_u64_u32 v[67:68], null, s3, v68, v[37:38]
	v_mov_b32_e32 v37, v66
	v_mad_u64_u32 v[68:69], null, s3, v69, v[39:40]
	v_add_f64 v[2:3], v[126:127], v[22:23]
	v_mad_u64_u32 v[61:62], null, s3, v61, v[19:20]
	v_mul_f64 v[62:63], v[53:54], s[22:23]
	v_add_f64 v[0:1], v[124:125], v[12:13]
	v_mul_f64 v[32:33], v[14:15], s[10:11]
	v_mul_f64 v[64:65], v[20:21], s[10:11]
	v_fma_f64 v[8:9], v[14:15], s[10:11], v[43:44]
	v_fma_f64 v[10:11], v[20:21], s[10:11], v[45:46]
	;; [unrolled: 1-line block ×4, first 2 shown]
	v_fma_f64 v[47:48], v[51:52], s[22:23], -v[47:48]
	v_fma_f64 v[49:50], v[53:54], s[22:23], -v[49:50]
	;; [unrolled: 1-line block ×5, first 2 shown]
	v_add_co_u32 v57, vcc_lo, v160, v24
	v_add_co_ci_u32_e32 v58, vcc_lo, v161, v25, vcc_lo
	v_mov_b32_e32 v19, v61
	v_mov_b32_e32 v39, v67
	v_fma_f64 v[22:23], v[22:23], s[16:17], v[2:3]
	v_lshlrev_b64 v[36:37], 4, v[36:37]
	v_mov_b32_e32 v41, v68
	v_fma_f64 v[51:52], v[59:60], s[18:19], -v[62:63]
	v_fma_f64 v[12:13], v[12:13], s[16:17], v[0:1]
	v_fma_f64 v[26:27], v[26:27], s[24:25], -v[32:33]
	v_fma_f64 v[28:29], v[28:29], s[24:25], -v[64:65]
	v_lshlrev_b64 v[32:33], 4, v[34:35]
	v_lshlrev_b64 v[38:39], 4, v[38:39]
	v_fma_f64 v[34:35], v[4:5], s[4:5], v[14:15]
	v_fma_f64 v[53:54], v[6:7], s[4:5], v[20:21]
	;; [unrolled: 1-line block ×5, first 2 shown]
	v_add_co_u32 v32, vcc_lo, v160, v32
	v_add_co_ci_u32_e32 v33, vcc_lo, v161, v33, vcc_lo
	v_add_co_u32 v59, vcc_lo, v160, v16
	v_add_co_ci_u32_e32 v60, vcc_lo, v161, v17, vcc_lo
	v_add_f64 v[55:56], v[10:11], v[22:23]
	v_add_f64 v[44:45], v[44:45], v[22:23]
	v_lshlrev_b64 v[40:41], 4, v[40:41]
	v_fma_f64 v[48:49], v[6:7], s[4:5], v[51:52]
	v_add_f64 v[50:51], v[8:9], v[12:13]
	v_add_f64 v[42:43], v[42:43], v[12:13]
	;; [unrolled: 1-line block ×4, first 2 shown]
	v_lshlrev_b64 v[28:29], 4, v[18:19]
	v_add_co_u32 v28, vcc_lo, v160, v28
	v_add_co_ci_u32_e32 v29, vcc_lo, v161, v29, vcc_lo
	v_add_f64 v[6:7], v[55:56], -v[34:35]
	v_add_f64 v[10:11], v[44:45], -v[30:31]
	v_add_f64 v[4:5], v[53:54], v[50:51]
	v_add_f64 v[8:9], v[48:49], v[42:43]
	v_add_f64 v[12:13], v[26:27], -v[46:47]
	v_add_f64 v[14:15], v[20:21], v[22:23]
	v_add_f64 v[16:17], v[46:47], v[26:27]
	v_add_f64 v[18:19], v[22:23], -v[20:21]
	v_add_f64 v[20:21], v[42:43], -v[48:49]
	v_add_f64 v[22:23], v[30:31], v[44:45]
	v_add_f64 v[24:25], v[50:51], -v[53:54]
	v_add_f64 v[26:27], v[34:35], v[55:56]
	v_add_co_u32 v30, vcc_lo, v160, v36
	v_add_co_ci_u32_e32 v31, vcc_lo, v161, v37, vcc_lo
	v_add_co_u32 v34, vcc_lo, v160, v38
	v_add_co_ci_u32_e32 v35, vcc_lo, v161, v39, vcc_lo
	;; [unrolled: 2-line block ×3, first 2 shown]
	global_store_dwordx4 v[57:58], v[0:3], off
	global_store_dwordx4 v[32:33], v[4:7], off
	global_store_dwordx4 v[59:60], v[8:11], off
	global_store_dwordx4 v[28:29], v[12:15], off
	global_store_dwordx4 v[30:31], v[16:19], off
	global_store_dwordx4 v[34:35], v[20:23], off
	global_store_dwordx4 v[36:37], v[24:27], off
.LBB0_20:
	s_endpgm
	.section	.rodata,"a",@progbits
	.p2align	6, 0x0
	.amdhsa_kernel fft_rtc_back_len945_factors_3_3_3_5_7_wgs_63_tpt_63_halfLds_dp_op_CI_CI_sbrr_dirReg
		.amdhsa_group_segment_fixed_size 0
		.amdhsa_private_segment_fixed_size 0
		.amdhsa_kernarg_size 104
		.amdhsa_user_sgpr_count 6
		.amdhsa_user_sgpr_private_segment_buffer 1
		.amdhsa_user_sgpr_dispatch_ptr 0
		.amdhsa_user_sgpr_queue_ptr 0
		.amdhsa_user_sgpr_kernarg_segment_ptr 1
		.amdhsa_user_sgpr_dispatch_id 0
		.amdhsa_user_sgpr_flat_scratch_init 0
		.amdhsa_user_sgpr_private_segment_size 0
		.amdhsa_wavefront_size32 1
		.amdhsa_uses_dynamic_stack 0
		.amdhsa_system_sgpr_private_segment_wavefront_offset 0
		.amdhsa_system_sgpr_workgroup_id_x 1
		.amdhsa_system_sgpr_workgroup_id_y 0
		.amdhsa_system_sgpr_workgroup_id_z 0
		.amdhsa_system_sgpr_workgroup_info 0
		.amdhsa_system_vgpr_workitem_id 0
		.amdhsa_next_free_vgpr 191
		.amdhsa_next_free_sgpr 31
		.amdhsa_reserve_vcc 1
		.amdhsa_reserve_flat_scratch 0
		.amdhsa_float_round_mode_32 0
		.amdhsa_float_round_mode_16_64 0
		.amdhsa_float_denorm_mode_32 3
		.amdhsa_float_denorm_mode_16_64 3
		.amdhsa_dx10_clamp 1
		.amdhsa_ieee_mode 1
		.amdhsa_fp16_overflow 0
		.amdhsa_workgroup_processor_mode 1
		.amdhsa_memory_ordered 1
		.amdhsa_forward_progress 0
		.amdhsa_shared_vgpr_count 0
		.amdhsa_exception_fp_ieee_invalid_op 0
		.amdhsa_exception_fp_denorm_src 0
		.amdhsa_exception_fp_ieee_div_zero 0
		.amdhsa_exception_fp_ieee_overflow 0
		.amdhsa_exception_fp_ieee_underflow 0
		.amdhsa_exception_fp_ieee_inexact 0
		.amdhsa_exception_int_div_zero 0
	.end_amdhsa_kernel
	.text
.Lfunc_end0:
	.size	fft_rtc_back_len945_factors_3_3_3_5_7_wgs_63_tpt_63_halfLds_dp_op_CI_CI_sbrr_dirReg, .Lfunc_end0-fft_rtc_back_len945_factors_3_3_3_5_7_wgs_63_tpt_63_halfLds_dp_op_CI_CI_sbrr_dirReg
                                        ; -- End function
	.section	.AMDGPU.csdata,"",@progbits
; Kernel info:
; codeLenInByte = 14104
; NumSgprs: 33
; NumVgprs: 191
; ScratchSize: 0
; MemoryBound: 1
; FloatMode: 240
; IeeeMode: 1
; LDSByteSize: 0 bytes/workgroup (compile time only)
; SGPRBlocks: 4
; VGPRBlocks: 23
; NumSGPRsForWavesPerEU: 33
; NumVGPRsForWavesPerEU: 191
; Occupancy: 5
; WaveLimiterHint : 1
; COMPUTE_PGM_RSRC2:SCRATCH_EN: 0
; COMPUTE_PGM_RSRC2:USER_SGPR: 6
; COMPUTE_PGM_RSRC2:TRAP_HANDLER: 0
; COMPUTE_PGM_RSRC2:TGID_X_EN: 1
; COMPUTE_PGM_RSRC2:TGID_Y_EN: 0
; COMPUTE_PGM_RSRC2:TGID_Z_EN: 0
; COMPUTE_PGM_RSRC2:TIDIG_COMP_CNT: 0
	.text
	.p2alignl 6, 3214868480
	.fill 48, 4, 3214868480
	.type	__hip_cuid_1a9b4a6668b954c7,@object ; @__hip_cuid_1a9b4a6668b954c7
	.section	.bss,"aw",@nobits
	.globl	__hip_cuid_1a9b4a6668b954c7
__hip_cuid_1a9b4a6668b954c7:
	.byte	0                               ; 0x0
	.size	__hip_cuid_1a9b4a6668b954c7, 1

	.ident	"AMD clang version 19.0.0git (https://github.com/RadeonOpenCompute/llvm-project roc-6.4.0 25133 c7fe45cf4b819c5991fe208aaa96edf142730f1d)"
	.section	".note.GNU-stack","",@progbits
	.addrsig
	.addrsig_sym __hip_cuid_1a9b4a6668b954c7
	.amdgpu_metadata
---
amdhsa.kernels:
  - .args:
      - .actual_access:  read_only
        .address_space:  global
        .offset:         0
        .size:           8
        .value_kind:     global_buffer
      - .offset:         8
        .size:           8
        .value_kind:     by_value
      - .actual_access:  read_only
        .address_space:  global
        .offset:         16
        .size:           8
        .value_kind:     global_buffer
      - .actual_access:  read_only
        .address_space:  global
        .offset:         24
        .size:           8
        .value_kind:     global_buffer
      - .actual_access:  read_only
        .address_space:  global
        .offset:         32
        .size:           8
        .value_kind:     global_buffer
      - .offset:         40
        .size:           8
        .value_kind:     by_value
      - .actual_access:  read_only
        .address_space:  global
        .offset:         48
        .size:           8
        .value_kind:     global_buffer
      - .actual_access:  read_only
        .address_space:  global
        .offset:         56
        .size:           8
        .value_kind:     global_buffer
      - .offset:         64
        .size:           4
        .value_kind:     by_value
      - .actual_access:  read_only
        .address_space:  global
        .offset:         72
        .size:           8
        .value_kind:     global_buffer
      - .actual_access:  read_only
        .address_space:  global
        .offset:         80
        .size:           8
        .value_kind:     global_buffer
      - .actual_access:  read_only
        .address_space:  global
        .offset:         88
        .size:           8
        .value_kind:     global_buffer
      - .actual_access:  write_only
        .address_space:  global
        .offset:         96
        .size:           8
        .value_kind:     global_buffer
    .group_segment_fixed_size: 0
    .kernarg_segment_align: 8
    .kernarg_segment_size: 104
    .language:       OpenCL C
    .language_version:
      - 2
      - 0
    .max_flat_workgroup_size: 63
    .name:           fft_rtc_back_len945_factors_3_3_3_5_7_wgs_63_tpt_63_halfLds_dp_op_CI_CI_sbrr_dirReg
    .private_segment_fixed_size: 0
    .sgpr_count:     33
    .sgpr_spill_count: 0
    .symbol:         fft_rtc_back_len945_factors_3_3_3_5_7_wgs_63_tpt_63_halfLds_dp_op_CI_CI_sbrr_dirReg.kd
    .uniform_work_group_size: 1
    .uses_dynamic_stack: false
    .vgpr_count:     191
    .vgpr_spill_count: 0
    .wavefront_size: 32
    .workgroup_processor_mode: 1
amdhsa.target:   amdgcn-amd-amdhsa--gfx1030
amdhsa.version:
  - 1
  - 2
...

	.end_amdgpu_metadata
